;; amdgpu-corpus repo=ROCm/rocSPARSE kind=compiled arch=gfx1030 opt=O3
	.amdgcn_target "amdgcn-amd-amdhsa--gfx1030"
	.amdhsa_code_object_version 6
	.section	.text._ZN9rocsparseL22bsrxmvn_general_kernelILj64ELj8EfiifffEEv20rocsparse_direction_NS_24const_host_device_scalarIT1_EET3_PKS5_PKT2_SA_S7_PKT4_S5_PKT5_S4_PT6_21rocsparse_index_base_b,"axG",@progbits,_ZN9rocsparseL22bsrxmvn_general_kernelILj64ELj8EfiifffEEv20rocsparse_direction_NS_24const_host_device_scalarIT1_EET3_PKS5_PKT2_SA_S7_PKT4_S5_PKT5_S4_PT6_21rocsparse_index_base_b,comdat
	.globl	_ZN9rocsparseL22bsrxmvn_general_kernelILj64ELj8EfiifffEEv20rocsparse_direction_NS_24const_host_device_scalarIT1_EET3_PKS5_PKT2_SA_S7_PKT4_S5_PKT5_S4_PT6_21rocsparse_index_base_b ; -- Begin function _ZN9rocsparseL22bsrxmvn_general_kernelILj64ELj8EfiifffEEv20rocsparse_direction_NS_24const_host_device_scalarIT1_EET3_PKS5_PKT2_SA_S7_PKT4_S5_PKT5_S4_PT6_21rocsparse_index_base_b
	.p2align	8
	.type	_ZN9rocsparseL22bsrxmvn_general_kernelILj64ELj8EfiifffEEv20rocsparse_direction_NS_24const_host_device_scalarIT1_EET3_PKS5_PKT2_SA_S7_PKT4_S5_PKT5_S4_PT6_21rocsparse_index_base_b,@function
_ZN9rocsparseL22bsrxmvn_general_kernelILj64ELj8EfiifffEEv20rocsparse_direction_NS_24const_host_device_scalarIT1_EET3_PKS5_PKT2_SA_S7_PKT4_S5_PKT5_S4_PT6_21rocsparse_index_base_b: ; @_ZN9rocsparseL22bsrxmvn_general_kernelILj64ELj8EfiifffEEv20rocsparse_direction_NS_24const_host_device_scalarIT1_EET3_PKS5_PKT2_SA_S7_PKT4_S5_PKT5_S4_PT6_21rocsparse_index_base_b
; %bb.0:
	s_clause 0x2
	s_load_dwordx2 s[2:3], s[4:5], 0x60
	s_load_dwordx2 s[16:17], s[4:5], 0x8
	;; [unrolled: 1-line block ×3, first 2 shown]
	s_waitcnt lgkmcnt(0)
	s_bitcmp1_b32 s3, 0
	s_cselect_b32 s0, -1, 0
	s_and_b32 vcc_lo, exec_lo, s0
	s_xor_b32 s0, s0, -1
	s_cbranch_vccnz .LBB0_2
; %bb.1:
	s_load_dword s16, s[16:17], 0x0
.LBB0_2:
	s_andn2_b32 vcc_lo, exec_lo, s0
	s_cbranch_vccnz .LBB0_4
; %bb.3:
	s_load_dword s18, s[18:19], 0x0
.LBB0_4:
	s_waitcnt lgkmcnt(0)
	v_cmp_neq_f32_e64 s0, s16, 0
	v_cmp_neq_f32_e64 s1, s18, 1.0
	s_or_b32 s0, s0, s1
	s_andn2_b32 vcc_lo, exec_lo, s0
	s_cbranch_vccnz .LBB0_26
; %bb.5:
	s_load_dwordx2 s[0:1], s[4:5], 0x18
	s_waitcnt lgkmcnt(0)
	s_cmp_eq_u64 s[0:1], 0
	s_cbranch_scc1 .LBB0_7
; %bb.6:
	s_ashr_i32 s7, s6, 31
	s_lshl_b64 s[6:7], s[6:7], 2
	s_add_u32 s0, s0, s6
	s_addc_u32 s1, s1, s7
	s_load_dword s0, s[0:1], 0x0
	s_waitcnt lgkmcnt(0)
	s_sub_i32 s6, s0, s2
.LBB0_7:
	s_load_dword s3, s[4:5], 0x40
	v_lshrrev_b32_e32 v1, 3, v0
	s_mov_b32 s0, exec_lo
	s_waitcnt lgkmcnt(0)
	v_cmpx_gt_i32_e64 s3, v1
	s_cbranch_execz .LBB0_26
; %bb.8:
	s_load_dwordx8 s[8:15], s[4:5], 0x20
	s_ashr_i32 s7, s6, 31
	v_mbcnt_lo_u32_b32 v4, -1, 0
	s_lshl_b64 s[0:1], s[6:7], 2
	v_and_b32_e32 v3, 7, v0
	v_mov_b32_e32 v2, 0
	s_mul_hi_u32 s17, s3, s3
	v_xor_b32_e32 v5, 4, v4
	v_xor_b32_e32 v6, 2, v4
	;; [unrolled: 1-line block ×3, first 2 shown]
	s_mul_i32 s19, s3, s3
	v_mul_lo_u32 v0, s3, v1
	v_cmp_gt_i32_e32 vcc_lo, 32, v5
	v_mul_lo_u32 v11, s3, v3
	s_mov_b32 s7, 0
	s_mul_i32 s6, s6, s3
	v_cndmask_b32_e32 v5, v4, v5, vcc_lo
	v_cmp_gt_i32_e32 vcc_lo, 32, v6
	s_waitcnt lgkmcnt(0)
	s_add_u32 s24, s8, s0
	s_addc_u32 s25, s9, s1
	v_lshlrev_b32_e32 v12, 2, v5
	s_load_dword s23, s[24:25], 0x0
	s_clause 0x2
	s_load_dwordx2 s[8:9], s[4:5], 0x58
	s_load_dwordx2 s[20:21], s[4:5], 0x48
	s_load_dword s4, s[4:5], 0x0
	v_cndmask_b32_e32 v6, v4, v6, vcc_lo
	v_cmp_gt_i32_e32 vcc_lo, 32, v7
	v_lshlrev_b32_e32 v13, 2, v6
	v_cndmask_b32_e32 v7, v4, v7, vcc_lo
	v_mov_b32_e32 v4, v2
	v_lshlrev_b32_e32 v14, 2, v7
	s_waitcnt lgkmcnt(0)
	s_sub_i32 s22, s23, s2
	s_add_u32 s5, s24, 4
	s_addc_u32 s24, s25, 0
	s_add_u32 s0, s10, s0
	s_addc_u32 s1, s11, s1
	s_cmp_eq_u64 s[10:11], 0
	s_mul_i32 s25, s22, s17
	s_cselect_b32 s1, s24, s1
	s_cselect_b32 s0, s5, s0
	v_cmp_eq_f32_e64 s10, s18, 0
	s_load_dword s5, s[0:1], 0x0
	v_cmp_gt_u32_e64 s0, s3, v3
	v_cmp_eq_u32_e64 s1, 7, v3
	s_waitcnt lgkmcnt(0)
	s_sub_i32 s11, s5, s2
	s_cmp_lt_i32 s23, s5
	s_mul_hi_u32 s5, s22, s19
	s_cselect_b32 s23, -1, 0
	s_cmp_lg_u32 s4, 0
	s_cselect_b32 s24, -1, 0
	s_ashr_i32 s4, s22, 31
	s_add_i32 s5, s5, s25
	s_mul_i32 s4, s4, s19
	s_mul_i32 s25, s22, s19
	s_add_i32 s26, s5, s4
	s_lshl_b32 s27, s3, 3
	s_branch .LBB0_10
.LBB0_9:                                ;   in Loop: Header=BB0_10 Depth=1
	s_or_b32 exec_lo, exec_lo, s4
	v_add_nc_u32_e32 v1, 8, v1
	v_add_nc_u32_e32 v0, s27, v0
	v_cmp_le_i32_e32 vcc_lo, s3, v1
	s_or_b32 s7, vcc_lo, s7
	s_andn2_b32 exec_lo, exec_lo, s7
	s_cbranch_execz .LBB0_26
.LBB0_10:                               ; =>This Loop Header: Depth=1
                                        ;     Child Loop BB0_14 Depth 2
                                        ;       Child Loop BB0_17 Depth 3
	v_mov_b32_e32 v15, 0
	s_andn2_b32 vcc_lo, exec_lo, s23
	s_cbranch_vccnz .LBB0_21
; %bb.11:                               ;   in Loop: Header=BB0_10 Depth=1
	v_ashrrev_i32_e32 v5, 31, v0
	v_add_co_u32 v16, vcc_lo, s25, v0
	v_mov_b32_e32 v15, 0
	s_mov_b32 s4, s22
	v_add_co_ci_u32_e64 v17, null, s26, v5, vcc_lo
	s_branch .LBB0_14
.LBB0_12:                               ;   in Loop: Header=BB0_14 Depth=2
	s_inst_prefetch 0x2
	s_or_b32 exec_lo, exec_lo, s5
.LBB0_13:                               ;   in Loop: Header=BB0_14 Depth=2
	s_or_b32 exec_lo, exec_lo, s28
	v_add_co_u32 v16, vcc_lo, v16, s19
	v_add_co_ci_u32_e64 v17, null, s17, v17, vcc_lo
	s_add_i32 s4, s4, 1
	s_cmp_ge_i32 s4, s11
	s_cbranch_scc1 .LBB0_21
.LBB0_14:                               ;   Parent Loop BB0_10 Depth=1
                                        ; =>  This Loop Header: Depth=2
                                        ;       Child Loop BB0_17 Depth 3
	s_and_saveexec_b32 s28, s0
	s_cbranch_execz .LBB0_13
; %bb.15:                               ;   in Loop: Header=BB0_14 Depth=2
	s_ashr_i32 s5, s4, 31
	s_waitcnt lgkmcnt(0)
	v_mad_u64_u32 v[5:6], null, s19, s4, v[1:2]
	s_lshl_b64 s[30:31], s[4:5], 2
	s_mul_i32 s5, s19, s5
	s_add_u32 s30, s12, s30
	s_addc_u32 s31, s13, s31
	v_mov_b32_e32 v8, v4
	s_load_dword s29, s[30:31], 0x0
	s_mul_i32 s30, s17, s4
	v_mov_b32_e32 v18, v11
	v_mov_b32_e32 v7, v3
	v_add3_u32 v6, s5, s30, v6
	s_waitcnt lgkmcnt(0)
	s_sub_i32 s5, s29, s2
	s_mul_i32 s29, s5, s3
	s_mov_b32 s5, 0
	s_inst_prefetch 0x1
	s_branch .LBB0_17
	.p2align	6
.LBB0_16:                               ;   in Loop: Header=BB0_17 Depth=3
	v_add_nc_u32_e32 v19, s29, v7
	v_lshlrev_b64 v[9:10], 2, v[9:10]
	v_add_nc_u32_e32 v18, s27, v18
	v_ashrrev_i32_e32 v20, 31, v19
	v_add_co_u32 v9, vcc_lo, s14, v9
	v_add_co_ci_u32_e64 v10, null, s15, v10, vcc_lo
	v_lshlrev_b64 v[19:20], 2, v[19:20]
	v_add_co_u32 v19, vcc_lo, s20, v19
	v_add_co_ci_u32_e64 v20, null, s21, v20, vcc_lo
	v_add_co_u32 v7, vcc_lo, v7, 8
	global_load_dword v9, v[9:10], off
	global_load_dword v10, v[19:20], off
	v_add_co_ci_u32_e64 v8, null, 0, v8, vcc_lo
	v_cmp_le_i32_e32 vcc_lo, s3, v7
	s_or_b32 s5, vcc_lo, s5
	s_waitcnt vmcnt(0)
	v_fmac_f32_e32 v15, v9, v10
	s_andn2_b32 exec_lo, exec_lo, s5
	s_cbranch_execz .LBB0_12
.LBB0_17:                               ;   Parent Loop BB0_10 Depth=1
                                        ;     Parent Loop BB0_14 Depth=2
                                        ; =>    This Inner Loop Header: Depth=3
	s_and_b32 vcc_lo, exec_lo, s24
	s_cbranch_vccz .LBB0_19
; %bb.18:                               ;   in Loop: Header=BB0_17 Depth=3
	v_ashrrev_i32_e32 v10, 31, v18
	v_add_co_u32 v9, vcc_lo, v5, v18
	v_add_co_ci_u32_e64 v10, null, v6, v10, vcc_lo
	s_cbranch_execnz .LBB0_16
	s_branch .LBB0_20
.LBB0_19:                               ;   in Loop: Header=BB0_17 Depth=3
                                        ; implicit-def: $vgpr9_vgpr10
.LBB0_20:                               ;   in Loop: Header=BB0_17 Depth=3
	v_add_co_u32 v9, vcc_lo, v16, v7
	v_add_co_ci_u32_e64 v10, null, v17, v8, vcc_lo
	s_branch .LBB0_16
.LBB0_21:                               ;   in Loop: Header=BB0_10 Depth=1
	ds_bpermute_b32 v5, v12, v15
	s_waitcnt lgkmcnt(0)
	v_add_f32_e32 v5, v15, v5
	ds_bpermute_b32 v6, v13, v5
	s_waitcnt lgkmcnt(0)
	v_add_f32_e32 v5, v5, v6
	ds_bpermute_b32 v6, v14, v5
	s_and_saveexec_b32 s4, s1
	s_cbranch_execz .LBB0_9
; %bb.22:                               ;   in Loop: Header=BB0_10 Depth=1
	s_waitcnt lgkmcnt(0)
	v_add_f32_e32 v6, v5, v6
	v_add_nc_u32_e32 v5, s6, v1
	s_and_b32 vcc_lo, exec_lo, s10
	v_mul_f32_e32 v7, s16, v6
	v_ashrrev_i32_e32 v6, 31, v5
	s_cbranch_vccz .LBB0_24
; %bb.23:                               ;   in Loop: Header=BB0_10 Depth=1
	v_lshlrev_b64 v[8:9], 2, v[5:6]
	v_add_co_u32 v8, vcc_lo, s8, v8
	v_add_co_ci_u32_e64 v9, null, s9, v9, vcc_lo
	global_store_dword v[8:9], v7, off
	s_cbranch_execnz .LBB0_9
	s_branch .LBB0_25
.LBB0_24:                               ;   in Loop: Header=BB0_10 Depth=1
.LBB0_25:                               ;   in Loop: Header=BB0_10 Depth=1
	v_lshlrev_b64 v[5:6], 2, v[5:6]
	v_add_co_u32 v5, vcc_lo, s8, v5
	v_add_co_ci_u32_e64 v6, null, s9, v6, vcc_lo
	global_load_dword v8, v[5:6], off
	s_waitcnt vmcnt(0)
	v_fmac_f32_e32 v7, s18, v8
	global_store_dword v[5:6], v7, off
	s_branch .LBB0_9
.LBB0_26:
	s_endpgm
	.section	.rodata,"a",@progbits
	.p2align	6, 0x0
	.amdhsa_kernel _ZN9rocsparseL22bsrxmvn_general_kernelILj64ELj8EfiifffEEv20rocsparse_direction_NS_24const_host_device_scalarIT1_EET3_PKS5_PKT2_SA_S7_PKT4_S5_PKT5_S4_PT6_21rocsparse_index_base_b
		.amdhsa_group_segment_fixed_size 0
		.amdhsa_private_segment_fixed_size 0
		.amdhsa_kernarg_size 104
		.amdhsa_user_sgpr_count 6
		.amdhsa_user_sgpr_private_segment_buffer 1
		.amdhsa_user_sgpr_dispatch_ptr 0
		.amdhsa_user_sgpr_queue_ptr 0
		.amdhsa_user_sgpr_kernarg_segment_ptr 1
		.amdhsa_user_sgpr_dispatch_id 0
		.amdhsa_user_sgpr_flat_scratch_init 0
		.amdhsa_user_sgpr_private_segment_size 0
		.amdhsa_wavefront_size32 1
		.amdhsa_uses_dynamic_stack 0
		.amdhsa_system_sgpr_private_segment_wavefront_offset 0
		.amdhsa_system_sgpr_workgroup_id_x 1
		.amdhsa_system_sgpr_workgroup_id_y 0
		.amdhsa_system_sgpr_workgroup_id_z 0
		.amdhsa_system_sgpr_workgroup_info 0
		.amdhsa_system_vgpr_workitem_id 0
		.amdhsa_next_free_vgpr 21
		.amdhsa_next_free_sgpr 32
		.amdhsa_reserve_vcc 1
		.amdhsa_reserve_flat_scratch 0
		.amdhsa_float_round_mode_32 0
		.amdhsa_float_round_mode_16_64 0
		.amdhsa_float_denorm_mode_32 3
		.amdhsa_float_denorm_mode_16_64 3
		.amdhsa_dx10_clamp 1
		.amdhsa_ieee_mode 1
		.amdhsa_fp16_overflow 0
		.amdhsa_workgroup_processor_mode 1
		.amdhsa_memory_ordered 1
		.amdhsa_forward_progress 1
		.amdhsa_shared_vgpr_count 0
		.amdhsa_exception_fp_ieee_invalid_op 0
		.amdhsa_exception_fp_denorm_src 0
		.amdhsa_exception_fp_ieee_div_zero 0
		.amdhsa_exception_fp_ieee_overflow 0
		.amdhsa_exception_fp_ieee_underflow 0
		.amdhsa_exception_fp_ieee_inexact 0
		.amdhsa_exception_int_div_zero 0
	.end_amdhsa_kernel
	.section	.text._ZN9rocsparseL22bsrxmvn_general_kernelILj64ELj8EfiifffEEv20rocsparse_direction_NS_24const_host_device_scalarIT1_EET3_PKS5_PKT2_SA_S7_PKT4_S5_PKT5_S4_PT6_21rocsparse_index_base_b,"axG",@progbits,_ZN9rocsparseL22bsrxmvn_general_kernelILj64ELj8EfiifffEEv20rocsparse_direction_NS_24const_host_device_scalarIT1_EET3_PKS5_PKT2_SA_S7_PKT4_S5_PKT5_S4_PT6_21rocsparse_index_base_b,comdat
.Lfunc_end0:
	.size	_ZN9rocsparseL22bsrxmvn_general_kernelILj64ELj8EfiifffEEv20rocsparse_direction_NS_24const_host_device_scalarIT1_EET3_PKS5_PKT2_SA_S7_PKT4_S5_PKT5_S4_PT6_21rocsparse_index_base_b, .Lfunc_end0-_ZN9rocsparseL22bsrxmvn_general_kernelILj64ELj8EfiifffEEv20rocsparse_direction_NS_24const_host_device_scalarIT1_EET3_PKS5_PKT2_SA_S7_PKT4_S5_PKT5_S4_PT6_21rocsparse_index_base_b
                                        ; -- End function
	.set _ZN9rocsparseL22bsrxmvn_general_kernelILj64ELj8EfiifffEEv20rocsparse_direction_NS_24const_host_device_scalarIT1_EET3_PKS5_PKT2_SA_S7_PKT4_S5_PKT5_S4_PT6_21rocsparse_index_base_b.num_vgpr, 21
	.set _ZN9rocsparseL22bsrxmvn_general_kernelILj64ELj8EfiifffEEv20rocsparse_direction_NS_24const_host_device_scalarIT1_EET3_PKS5_PKT2_SA_S7_PKT4_S5_PKT5_S4_PT6_21rocsparse_index_base_b.num_agpr, 0
	.set _ZN9rocsparseL22bsrxmvn_general_kernelILj64ELj8EfiifffEEv20rocsparse_direction_NS_24const_host_device_scalarIT1_EET3_PKS5_PKT2_SA_S7_PKT4_S5_PKT5_S4_PT6_21rocsparse_index_base_b.numbered_sgpr, 32
	.set _ZN9rocsparseL22bsrxmvn_general_kernelILj64ELj8EfiifffEEv20rocsparse_direction_NS_24const_host_device_scalarIT1_EET3_PKS5_PKT2_SA_S7_PKT4_S5_PKT5_S4_PT6_21rocsparse_index_base_b.num_named_barrier, 0
	.set _ZN9rocsparseL22bsrxmvn_general_kernelILj64ELj8EfiifffEEv20rocsparse_direction_NS_24const_host_device_scalarIT1_EET3_PKS5_PKT2_SA_S7_PKT4_S5_PKT5_S4_PT6_21rocsparse_index_base_b.private_seg_size, 0
	.set _ZN9rocsparseL22bsrxmvn_general_kernelILj64ELj8EfiifffEEv20rocsparse_direction_NS_24const_host_device_scalarIT1_EET3_PKS5_PKT2_SA_S7_PKT4_S5_PKT5_S4_PT6_21rocsparse_index_base_b.uses_vcc, 1
	.set _ZN9rocsparseL22bsrxmvn_general_kernelILj64ELj8EfiifffEEv20rocsparse_direction_NS_24const_host_device_scalarIT1_EET3_PKS5_PKT2_SA_S7_PKT4_S5_PKT5_S4_PT6_21rocsparse_index_base_b.uses_flat_scratch, 0
	.set _ZN9rocsparseL22bsrxmvn_general_kernelILj64ELj8EfiifffEEv20rocsparse_direction_NS_24const_host_device_scalarIT1_EET3_PKS5_PKT2_SA_S7_PKT4_S5_PKT5_S4_PT6_21rocsparse_index_base_b.has_dyn_sized_stack, 0
	.set _ZN9rocsparseL22bsrxmvn_general_kernelILj64ELj8EfiifffEEv20rocsparse_direction_NS_24const_host_device_scalarIT1_EET3_PKS5_PKT2_SA_S7_PKT4_S5_PKT5_S4_PT6_21rocsparse_index_base_b.has_recursion, 0
	.set _ZN9rocsparseL22bsrxmvn_general_kernelILj64ELj8EfiifffEEv20rocsparse_direction_NS_24const_host_device_scalarIT1_EET3_PKS5_PKT2_SA_S7_PKT4_S5_PKT5_S4_PT6_21rocsparse_index_base_b.has_indirect_call, 0
	.section	.AMDGPU.csdata,"",@progbits
; Kernel info:
; codeLenInByte = 1048
; TotalNumSgprs: 34
; NumVgprs: 21
; ScratchSize: 0
; MemoryBound: 0
; FloatMode: 240
; IeeeMode: 1
; LDSByteSize: 0 bytes/workgroup (compile time only)
; SGPRBlocks: 0
; VGPRBlocks: 2
; NumSGPRsForWavesPerEU: 34
; NumVGPRsForWavesPerEU: 21
; Occupancy: 16
; WaveLimiterHint : 1
; COMPUTE_PGM_RSRC2:SCRATCH_EN: 0
; COMPUTE_PGM_RSRC2:USER_SGPR: 6
; COMPUTE_PGM_RSRC2:TRAP_HANDLER: 0
; COMPUTE_PGM_RSRC2:TGID_X_EN: 1
; COMPUTE_PGM_RSRC2:TGID_Y_EN: 0
; COMPUTE_PGM_RSRC2:TGID_Z_EN: 0
; COMPUTE_PGM_RSRC2:TIDIG_COMP_CNT: 0
	.section	.text._ZN9rocsparseL22bsrxmvn_general_kernelILj256ELj16EfiifffEEv20rocsparse_direction_NS_24const_host_device_scalarIT1_EET3_PKS5_PKT2_SA_S7_PKT4_S5_PKT5_S4_PT6_21rocsparse_index_base_b,"axG",@progbits,_ZN9rocsparseL22bsrxmvn_general_kernelILj256ELj16EfiifffEEv20rocsparse_direction_NS_24const_host_device_scalarIT1_EET3_PKS5_PKT2_SA_S7_PKT4_S5_PKT5_S4_PT6_21rocsparse_index_base_b,comdat
	.globl	_ZN9rocsparseL22bsrxmvn_general_kernelILj256ELj16EfiifffEEv20rocsparse_direction_NS_24const_host_device_scalarIT1_EET3_PKS5_PKT2_SA_S7_PKT4_S5_PKT5_S4_PT6_21rocsparse_index_base_b ; -- Begin function _ZN9rocsparseL22bsrxmvn_general_kernelILj256ELj16EfiifffEEv20rocsparse_direction_NS_24const_host_device_scalarIT1_EET3_PKS5_PKT2_SA_S7_PKT4_S5_PKT5_S4_PT6_21rocsparse_index_base_b
	.p2align	8
	.type	_ZN9rocsparseL22bsrxmvn_general_kernelILj256ELj16EfiifffEEv20rocsparse_direction_NS_24const_host_device_scalarIT1_EET3_PKS5_PKT2_SA_S7_PKT4_S5_PKT5_S4_PT6_21rocsparse_index_base_b,@function
_ZN9rocsparseL22bsrxmvn_general_kernelILj256ELj16EfiifffEEv20rocsparse_direction_NS_24const_host_device_scalarIT1_EET3_PKS5_PKT2_SA_S7_PKT4_S5_PKT5_S4_PT6_21rocsparse_index_base_b: ; @_ZN9rocsparseL22bsrxmvn_general_kernelILj256ELj16EfiifffEEv20rocsparse_direction_NS_24const_host_device_scalarIT1_EET3_PKS5_PKT2_SA_S7_PKT4_S5_PKT5_S4_PT6_21rocsparse_index_base_b
; %bb.0:
	s_clause 0x2
	s_load_dwordx2 s[2:3], s[4:5], 0x60
	s_load_dwordx2 s[16:17], s[4:5], 0x8
	;; [unrolled: 1-line block ×3, first 2 shown]
	s_waitcnt lgkmcnt(0)
	s_bitcmp1_b32 s3, 0
	s_cselect_b32 s0, -1, 0
	s_and_b32 vcc_lo, exec_lo, s0
	s_xor_b32 s0, s0, -1
	s_cbranch_vccnz .LBB1_2
; %bb.1:
	s_load_dword s16, s[16:17], 0x0
.LBB1_2:
	s_andn2_b32 vcc_lo, exec_lo, s0
	s_cbranch_vccnz .LBB1_4
; %bb.3:
	s_load_dword s18, s[18:19], 0x0
.LBB1_4:
	s_waitcnt lgkmcnt(0)
	v_cmp_neq_f32_e64 s0, s16, 0
	v_cmp_neq_f32_e64 s1, s18, 1.0
	s_or_b32 s0, s0, s1
	s_andn2_b32 vcc_lo, exec_lo, s0
	s_cbranch_vccnz .LBB1_26
; %bb.5:
	s_load_dwordx2 s[0:1], s[4:5], 0x18
	s_waitcnt lgkmcnt(0)
	s_cmp_eq_u64 s[0:1], 0
	s_cbranch_scc1 .LBB1_7
; %bb.6:
	s_ashr_i32 s7, s6, 31
	s_lshl_b64 s[6:7], s[6:7], 2
	s_add_u32 s0, s0, s6
	s_addc_u32 s1, s1, s7
	s_load_dword s0, s[0:1], 0x0
	s_waitcnt lgkmcnt(0)
	s_sub_i32 s6, s0, s2
.LBB1_7:
	s_load_dword s3, s[4:5], 0x40
	v_lshrrev_b32_e32 v1, 4, v0
	s_mov_b32 s0, exec_lo
	s_waitcnt lgkmcnt(0)
	v_cmpx_gt_i32_e64 s3, v1
	s_cbranch_execz .LBB1_26
; %bb.8:
	s_load_dwordx8 s[8:15], s[4:5], 0x20
	s_ashr_i32 s7, s6, 31
	v_mbcnt_lo_u32_b32 v5, -1, 0
	s_lshl_b64 s[0:1], s[6:7], 2
	s_load_dword s27, s[4:5], 0x0
	v_and_b32_e32 v3, 15, v0
	v_mov_b32_e32 v2, 0
	v_xor_b32_e32 v6, 8, v5
	v_xor_b32_e32 v7, 4, v5
	;; [unrolled: 1-line block ×4, first 2 shown]
	s_mul_hi_u32 s17, s3, s3
	v_cmp_gt_i32_e32 vcc_lo, 32, v6
	s_mul_i32 s19, s3, s3
	v_mul_lo_u32 v0, s3, v1
	v_mul_lo_u32 v11, s3, v3
	v_cmp_eq_f32_e64 s22, s18, 0
	v_cndmask_b32_e32 v6, v5, v6, vcc_lo
	v_cmp_gt_i32_e32 vcc_lo, 32, v7
	v_mov_b32_e32 v4, v2
	s_waitcnt lgkmcnt(0)
	s_add_u32 s24, s8, s0
	s_addc_u32 s25, s9, s1
	v_lshlrev_b32_e32 v12, 2, v6
	s_load_dword s26, s[24:25], 0x0
	s_clause 0x1
	s_load_dwordx2 s[8:9], s[4:5], 0x58
	s_load_dwordx2 s[20:21], s[4:5], 0x48
	v_cndmask_b32_e32 v7, v5, v7, vcc_lo
	v_cmp_gt_i32_e32 vcc_lo, 32, v8
	s_mov_b32 s7, 0
	s_mul_i32 s6, s6, s3
	v_lshlrev_b32_e32 v13, 2, v7
	v_cndmask_b32_e32 v8, v5, v8, vcc_lo
	v_cmp_gt_i32_e32 vcc_lo, 32, v9
	v_lshlrev_b32_e32 v14, 2, v8
	v_cndmask_b32_e32 v5, v5, v9, vcc_lo
	v_lshlrev_b32_e32 v15, 2, v5
	s_waitcnt lgkmcnt(0)
	s_sub_i32 s23, s26, s2
	s_add_u32 s4, s24, 4
	s_addc_u32 s5, s25, 0
	s_add_u32 s24, s10, s0
	s_addc_u32 s1, s11, s1
	s_cmp_eq_u64 s[10:11], 0
	v_cmp_gt_u32_e64 s0, s3, v3
	s_cselect_b32 s5, s5, s1
	s_cselect_b32 s4, s4, s24
	v_cmp_eq_u32_e64 s1, 15, v3
	s_load_dword s4, s[4:5], 0x0
	s_mul_i32 s5, s23, s17
	s_waitcnt lgkmcnt(0)
	s_sub_i32 s10, s4, s2
	s_cmp_lt_i32 s26, s4
	s_mul_hi_u32 s4, s23, s19
	s_cselect_b32 s11, -1, 0
	s_cmp_lg_u32 s27, 0
	s_cselect_b32 s24, -1, 0
	s_ashr_i32 s25, s23, 31
	s_add_i32 s4, s4, s5
	s_mul_i32 s5, s25, s19
	s_mul_i32 s25, s23, s19
	s_add_i32 s26, s4, s5
	s_lshl_b32 s27, s3, 4
	s_branch .LBB1_10
.LBB1_9:                                ;   in Loop: Header=BB1_10 Depth=1
	s_or_b32 exec_lo, exec_lo, s4
	v_add_nc_u32_e32 v1, 16, v1
	v_add_nc_u32_e32 v0, s27, v0
	v_cmp_le_i32_e32 vcc_lo, s3, v1
	s_or_b32 s7, vcc_lo, s7
	s_andn2_b32 exec_lo, exec_lo, s7
	s_cbranch_execz .LBB1_26
.LBB1_10:                               ; =>This Loop Header: Depth=1
                                        ;     Child Loop BB1_14 Depth 2
                                        ;       Child Loop BB1_17 Depth 3
	v_mov_b32_e32 v16, 0
	s_andn2_b32 vcc_lo, exec_lo, s11
	s_cbranch_vccnz .LBB1_21
; %bb.11:                               ;   in Loop: Header=BB1_10 Depth=1
	v_ashrrev_i32_e32 v5, 31, v0
	v_add_co_u32 v17, vcc_lo, s25, v0
	v_mov_b32_e32 v16, 0
	s_mov_b32 s4, s23
	v_add_co_ci_u32_e64 v18, null, s26, v5, vcc_lo
	s_branch .LBB1_14
.LBB1_12:                               ;   in Loop: Header=BB1_14 Depth=2
	s_inst_prefetch 0x2
	s_or_b32 exec_lo, exec_lo, s5
.LBB1_13:                               ;   in Loop: Header=BB1_14 Depth=2
	s_or_b32 exec_lo, exec_lo, s28
	v_add_co_u32 v17, vcc_lo, v17, s19
	v_add_co_ci_u32_e64 v18, null, s17, v18, vcc_lo
	s_add_i32 s4, s4, 1
	s_cmp_ge_i32 s4, s10
	s_cbranch_scc1 .LBB1_21
.LBB1_14:                               ;   Parent Loop BB1_10 Depth=1
                                        ; =>  This Loop Header: Depth=2
                                        ;       Child Loop BB1_17 Depth 3
	s_and_saveexec_b32 s28, s0
	s_cbranch_execz .LBB1_13
; %bb.15:                               ;   in Loop: Header=BB1_14 Depth=2
	s_ashr_i32 s5, s4, 31
	s_waitcnt lgkmcnt(0)
	v_mad_u64_u32 v[5:6], null, s19, s4, v[1:2]
	s_lshl_b64 s[30:31], s[4:5], 2
	s_mul_i32 s5, s19, s5
	s_add_u32 s30, s12, s30
	s_addc_u32 s31, s13, s31
	v_mov_b32_e32 v8, v4
	s_load_dword s29, s[30:31], 0x0
	s_mul_i32 s30, s17, s4
	v_mov_b32_e32 v19, v11
	v_mov_b32_e32 v7, v3
	v_add3_u32 v6, s5, s30, v6
	s_waitcnt lgkmcnt(0)
	s_sub_i32 s5, s29, s2
	s_mul_i32 s29, s5, s3
	s_mov_b32 s5, 0
	s_inst_prefetch 0x1
	s_branch .LBB1_17
	.p2align	6
.LBB1_16:                               ;   in Loop: Header=BB1_17 Depth=3
	v_add_nc_u32_e32 v20, s29, v7
	v_lshlrev_b64 v[9:10], 2, v[9:10]
	v_add_nc_u32_e32 v19, s27, v19
	v_ashrrev_i32_e32 v21, 31, v20
	v_add_co_u32 v9, vcc_lo, s14, v9
	v_add_co_ci_u32_e64 v10, null, s15, v10, vcc_lo
	v_lshlrev_b64 v[20:21], 2, v[20:21]
	v_add_co_u32 v20, vcc_lo, s20, v20
	v_add_co_ci_u32_e64 v21, null, s21, v21, vcc_lo
	v_add_co_u32 v7, vcc_lo, v7, 16
	global_load_dword v9, v[9:10], off
	global_load_dword v10, v[20:21], off
	v_add_co_ci_u32_e64 v8, null, 0, v8, vcc_lo
	v_cmp_le_i32_e32 vcc_lo, s3, v7
	s_or_b32 s5, vcc_lo, s5
	s_waitcnt vmcnt(0)
	v_fmac_f32_e32 v16, v9, v10
	s_andn2_b32 exec_lo, exec_lo, s5
	s_cbranch_execz .LBB1_12
.LBB1_17:                               ;   Parent Loop BB1_10 Depth=1
                                        ;     Parent Loop BB1_14 Depth=2
                                        ; =>    This Inner Loop Header: Depth=3
	s_and_b32 vcc_lo, exec_lo, s24
	s_cbranch_vccz .LBB1_19
; %bb.18:                               ;   in Loop: Header=BB1_17 Depth=3
	v_ashrrev_i32_e32 v10, 31, v19
	v_add_co_u32 v9, vcc_lo, v5, v19
	v_add_co_ci_u32_e64 v10, null, v6, v10, vcc_lo
	s_cbranch_execnz .LBB1_16
	s_branch .LBB1_20
.LBB1_19:                               ;   in Loop: Header=BB1_17 Depth=3
                                        ; implicit-def: $vgpr9_vgpr10
.LBB1_20:                               ;   in Loop: Header=BB1_17 Depth=3
	v_add_co_u32 v9, vcc_lo, v17, v7
	v_add_co_ci_u32_e64 v10, null, v18, v8, vcc_lo
	s_branch .LBB1_16
.LBB1_21:                               ;   in Loop: Header=BB1_10 Depth=1
	ds_bpermute_b32 v5, v12, v16
	s_waitcnt lgkmcnt(0)
	v_add_f32_e32 v5, v16, v5
	ds_bpermute_b32 v6, v13, v5
	s_waitcnt lgkmcnt(0)
	v_add_f32_e32 v5, v5, v6
	;; [unrolled: 3-line block ×3, first 2 shown]
	ds_bpermute_b32 v6, v15, v5
	s_and_saveexec_b32 s4, s1
	s_cbranch_execz .LBB1_9
; %bb.22:                               ;   in Loop: Header=BB1_10 Depth=1
	s_waitcnt lgkmcnt(0)
	v_add_f32_e32 v6, v5, v6
	v_add_nc_u32_e32 v5, s6, v1
	s_and_b32 vcc_lo, exec_lo, s22
	v_mul_f32_e32 v7, s16, v6
	v_ashrrev_i32_e32 v6, 31, v5
	s_cbranch_vccz .LBB1_24
; %bb.23:                               ;   in Loop: Header=BB1_10 Depth=1
	v_lshlrev_b64 v[8:9], 2, v[5:6]
	v_add_co_u32 v8, vcc_lo, s8, v8
	v_add_co_ci_u32_e64 v9, null, s9, v9, vcc_lo
	global_store_dword v[8:9], v7, off
	s_cbranch_execnz .LBB1_9
	s_branch .LBB1_25
.LBB1_24:                               ;   in Loop: Header=BB1_10 Depth=1
.LBB1_25:                               ;   in Loop: Header=BB1_10 Depth=1
	v_lshlrev_b64 v[5:6], 2, v[5:6]
	v_add_co_u32 v5, vcc_lo, s8, v5
	v_add_co_ci_u32_e64 v6, null, s9, v6, vcc_lo
	global_load_dword v8, v[5:6], off
	s_waitcnt vmcnt(0)
	v_fmac_f32_e32 v7, s18, v8
	global_store_dword v[5:6], v7, off
	s_branch .LBB1_9
.LBB1_26:
	s_endpgm
	.section	.rodata,"a",@progbits
	.p2align	6, 0x0
	.amdhsa_kernel _ZN9rocsparseL22bsrxmvn_general_kernelILj256ELj16EfiifffEEv20rocsparse_direction_NS_24const_host_device_scalarIT1_EET3_PKS5_PKT2_SA_S7_PKT4_S5_PKT5_S4_PT6_21rocsparse_index_base_b
		.amdhsa_group_segment_fixed_size 0
		.amdhsa_private_segment_fixed_size 0
		.amdhsa_kernarg_size 104
		.amdhsa_user_sgpr_count 6
		.amdhsa_user_sgpr_private_segment_buffer 1
		.amdhsa_user_sgpr_dispatch_ptr 0
		.amdhsa_user_sgpr_queue_ptr 0
		.amdhsa_user_sgpr_kernarg_segment_ptr 1
		.amdhsa_user_sgpr_dispatch_id 0
		.amdhsa_user_sgpr_flat_scratch_init 0
		.amdhsa_user_sgpr_private_segment_size 0
		.amdhsa_wavefront_size32 1
		.amdhsa_uses_dynamic_stack 0
		.amdhsa_system_sgpr_private_segment_wavefront_offset 0
		.amdhsa_system_sgpr_workgroup_id_x 1
		.amdhsa_system_sgpr_workgroup_id_y 0
		.amdhsa_system_sgpr_workgroup_id_z 0
		.amdhsa_system_sgpr_workgroup_info 0
		.amdhsa_system_vgpr_workitem_id 0
		.amdhsa_next_free_vgpr 22
		.amdhsa_next_free_sgpr 32
		.amdhsa_reserve_vcc 1
		.amdhsa_reserve_flat_scratch 0
		.amdhsa_float_round_mode_32 0
		.amdhsa_float_round_mode_16_64 0
		.amdhsa_float_denorm_mode_32 3
		.amdhsa_float_denorm_mode_16_64 3
		.amdhsa_dx10_clamp 1
		.amdhsa_ieee_mode 1
		.amdhsa_fp16_overflow 0
		.amdhsa_workgroup_processor_mode 1
		.amdhsa_memory_ordered 1
		.amdhsa_forward_progress 1
		.amdhsa_shared_vgpr_count 0
		.amdhsa_exception_fp_ieee_invalid_op 0
		.amdhsa_exception_fp_denorm_src 0
		.amdhsa_exception_fp_ieee_div_zero 0
		.amdhsa_exception_fp_ieee_overflow 0
		.amdhsa_exception_fp_ieee_underflow 0
		.amdhsa_exception_fp_ieee_inexact 0
		.amdhsa_exception_int_div_zero 0
	.end_amdhsa_kernel
	.section	.text._ZN9rocsparseL22bsrxmvn_general_kernelILj256ELj16EfiifffEEv20rocsparse_direction_NS_24const_host_device_scalarIT1_EET3_PKS5_PKT2_SA_S7_PKT4_S5_PKT5_S4_PT6_21rocsparse_index_base_b,"axG",@progbits,_ZN9rocsparseL22bsrxmvn_general_kernelILj256ELj16EfiifffEEv20rocsparse_direction_NS_24const_host_device_scalarIT1_EET3_PKS5_PKT2_SA_S7_PKT4_S5_PKT5_S4_PT6_21rocsparse_index_base_b,comdat
.Lfunc_end1:
	.size	_ZN9rocsparseL22bsrxmvn_general_kernelILj256ELj16EfiifffEEv20rocsparse_direction_NS_24const_host_device_scalarIT1_EET3_PKS5_PKT2_SA_S7_PKT4_S5_PKT5_S4_PT6_21rocsparse_index_base_b, .Lfunc_end1-_ZN9rocsparseL22bsrxmvn_general_kernelILj256ELj16EfiifffEEv20rocsparse_direction_NS_24const_host_device_scalarIT1_EET3_PKS5_PKT2_SA_S7_PKT4_S5_PKT5_S4_PT6_21rocsparse_index_base_b
                                        ; -- End function
	.set _ZN9rocsparseL22bsrxmvn_general_kernelILj256ELj16EfiifffEEv20rocsparse_direction_NS_24const_host_device_scalarIT1_EET3_PKS5_PKT2_SA_S7_PKT4_S5_PKT5_S4_PT6_21rocsparse_index_base_b.num_vgpr, 22
	.set _ZN9rocsparseL22bsrxmvn_general_kernelILj256ELj16EfiifffEEv20rocsparse_direction_NS_24const_host_device_scalarIT1_EET3_PKS5_PKT2_SA_S7_PKT4_S5_PKT5_S4_PT6_21rocsparse_index_base_b.num_agpr, 0
	.set _ZN9rocsparseL22bsrxmvn_general_kernelILj256ELj16EfiifffEEv20rocsparse_direction_NS_24const_host_device_scalarIT1_EET3_PKS5_PKT2_SA_S7_PKT4_S5_PKT5_S4_PT6_21rocsparse_index_base_b.numbered_sgpr, 32
	.set _ZN9rocsparseL22bsrxmvn_general_kernelILj256ELj16EfiifffEEv20rocsparse_direction_NS_24const_host_device_scalarIT1_EET3_PKS5_PKT2_SA_S7_PKT4_S5_PKT5_S4_PT6_21rocsparse_index_base_b.num_named_barrier, 0
	.set _ZN9rocsparseL22bsrxmvn_general_kernelILj256ELj16EfiifffEEv20rocsparse_direction_NS_24const_host_device_scalarIT1_EET3_PKS5_PKT2_SA_S7_PKT4_S5_PKT5_S4_PT6_21rocsparse_index_base_b.private_seg_size, 0
	.set _ZN9rocsparseL22bsrxmvn_general_kernelILj256ELj16EfiifffEEv20rocsparse_direction_NS_24const_host_device_scalarIT1_EET3_PKS5_PKT2_SA_S7_PKT4_S5_PKT5_S4_PT6_21rocsparse_index_base_b.uses_vcc, 1
	.set _ZN9rocsparseL22bsrxmvn_general_kernelILj256ELj16EfiifffEEv20rocsparse_direction_NS_24const_host_device_scalarIT1_EET3_PKS5_PKT2_SA_S7_PKT4_S5_PKT5_S4_PT6_21rocsparse_index_base_b.uses_flat_scratch, 0
	.set _ZN9rocsparseL22bsrxmvn_general_kernelILj256ELj16EfiifffEEv20rocsparse_direction_NS_24const_host_device_scalarIT1_EET3_PKS5_PKT2_SA_S7_PKT4_S5_PKT5_S4_PT6_21rocsparse_index_base_b.has_dyn_sized_stack, 0
	.set _ZN9rocsparseL22bsrxmvn_general_kernelILj256ELj16EfiifffEEv20rocsparse_direction_NS_24const_host_device_scalarIT1_EET3_PKS5_PKT2_SA_S7_PKT4_S5_PKT5_S4_PT6_21rocsparse_index_base_b.has_recursion, 0
	.set _ZN9rocsparseL22bsrxmvn_general_kernelILj256ELj16EfiifffEEv20rocsparse_direction_NS_24const_host_device_scalarIT1_EET3_PKS5_PKT2_SA_S7_PKT4_S5_PKT5_S4_PT6_21rocsparse_index_base_b.has_indirect_call, 0
	.section	.AMDGPU.csdata,"",@progbits
; Kernel info:
; codeLenInByte = 1128
; TotalNumSgprs: 34
; NumVgprs: 22
; ScratchSize: 0
; MemoryBound: 0
; FloatMode: 240
; IeeeMode: 1
; LDSByteSize: 0 bytes/workgroup (compile time only)
; SGPRBlocks: 0
; VGPRBlocks: 2
; NumSGPRsForWavesPerEU: 34
; NumVGPRsForWavesPerEU: 22
; Occupancy: 16
; WaveLimiterHint : 1
; COMPUTE_PGM_RSRC2:SCRATCH_EN: 0
; COMPUTE_PGM_RSRC2:USER_SGPR: 6
; COMPUTE_PGM_RSRC2:TRAP_HANDLER: 0
; COMPUTE_PGM_RSRC2:TGID_X_EN: 1
; COMPUTE_PGM_RSRC2:TGID_Y_EN: 0
; COMPUTE_PGM_RSRC2:TGID_Z_EN: 0
; COMPUTE_PGM_RSRC2:TIDIG_COMP_CNT: 0
	.section	.text._ZN9rocsparseL22bsrxmvn_general_kernelILj1024ELj32EfiifffEEv20rocsparse_direction_NS_24const_host_device_scalarIT1_EET3_PKS5_PKT2_SA_S7_PKT4_S5_PKT5_S4_PT6_21rocsparse_index_base_b,"axG",@progbits,_ZN9rocsparseL22bsrxmvn_general_kernelILj1024ELj32EfiifffEEv20rocsparse_direction_NS_24const_host_device_scalarIT1_EET3_PKS5_PKT2_SA_S7_PKT4_S5_PKT5_S4_PT6_21rocsparse_index_base_b,comdat
	.globl	_ZN9rocsparseL22bsrxmvn_general_kernelILj1024ELj32EfiifffEEv20rocsparse_direction_NS_24const_host_device_scalarIT1_EET3_PKS5_PKT2_SA_S7_PKT4_S5_PKT5_S4_PT6_21rocsparse_index_base_b ; -- Begin function _ZN9rocsparseL22bsrxmvn_general_kernelILj1024ELj32EfiifffEEv20rocsparse_direction_NS_24const_host_device_scalarIT1_EET3_PKS5_PKT2_SA_S7_PKT4_S5_PKT5_S4_PT6_21rocsparse_index_base_b
	.p2align	8
	.type	_ZN9rocsparseL22bsrxmvn_general_kernelILj1024ELj32EfiifffEEv20rocsparse_direction_NS_24const_host_device_scalarIT1_EET3_PKS5_PKT2_SA_S7_PKT4_S5_PKT5_S4_PT6_21rocsparse_index_base_b,@function
_ZN9rocsparseL22bsrxmvn_general_kernelILj1024ELj32EfiifffEEv20rocsparse_direction_NS_24const_host_device_scalarIT1_EET3_PKS5_PKT2_SA_S7_PKT4_S5_PKT5_S4_PT6_21rocsparse_index_base_b: ; @_ZN9rocsparseL22bsrxmvn_general_kernelILj1024ELj32EfiifffEEv20rocsparse_direction_NS_24const_host_device_scalarIT1_EET3_PKS5_PKT2_SA_S7_PKT4_S5_PKT5_S4_PT6_21rocsparse_index_base_b
; %bb.0:
	s_clause 0x2
	s_load_dwordx2 s[2:3], s[4:5], 0x60
	s_load_dwordx2 s[16:17], s[4:5], 0x8
	;; [unrolled: 1-line block ×3, first 2 shown]
	s_waitcnt lgkmcnt(0)
	s_bitcmp1_b32 s3, 0
	s_cselect_b32 s0, -1, 0
	s_and_b32 vcc_lo, exec_lo, s0
	s_xor_b32 s0, s0, -1
	s_cbranch_vccnz .LBB2_2
; %bb.1:
	s_load_dword s16, s[16:17], 0x0
.LBB2_2:
	s_andn2_b32 vcc_lo, exec_lo, s0
	s_cbranch_vccnz .LBB2_4
; %bb.3:
	s_load_dword s18, s[18:19], 0x0
.LBB2_4:
	s_waitcnt lgkmcnt(0)
	v_cmp_neq_f32_e64 s0, s16, 0
	v_cmp_neq_f32_e64 s1, s18, 1.0
	s_or_b32 s0, s0, s1
	s_andn2_b32 vcc_lo, exec_lo, s0
	s_cbranch_vccnz .LBB2_26
; %bb.5:
	s_load_dwordx2 s[0:1], s[4:5], 0x18
	s_waitcnt lgkmcnt(0)
	s_cmp_eq_u64 s[0:1], 0
	s_cbranch_scc1 .LBB2_7
; %bb.6:
	s_ashr_i32 s7, s6, 31
	s_lshl_b64 s[6:7], s[6:7], 2
	s_add_u32 s0, s0, s6
	s_addc_u32 s1, s1, s7
	s_load_dword s0, s[0:1], 0x0
	s_waitcnt lgkmcnt(0)
	s_sub_i32 s6, s0, s2
.LBB2_7:
	s_load_dword s3, s[4:5], 0x40
	v_lshrrev_b32_e32 v1, 5, v0
	s_mov_b32 s0, exec_lo
	s_waitcnt lgkmcnt(0)
	v_cmpx_gt_i32_e64 s3, v1
	s_cbranch_execz .LBB2_26
; %bb.8:
	s_load_dwordx8 s[8:15], s[4:5], 0x20
	s_ashr_i32 s7, s6, 31
	v_mbcnt_lo_u32_b32 v5, -1, 0
	s_lshl_b64 s[24:25], s[6:7], 2
	s_load_dword s29, s[4:5], 0x0
	v_and_b32_e32 v3, 31, v0
	v_mov_b32_e32 v2, 0
	v_xor_b32_e32 v6, 16, v5
	v_xor_b32_e32 v7, 8, v5
	;; [unrolled: 1-line block ×5, first 2 shown]
	v_cmp_gt_i32_e32 vcc_lo, 32, v6
	s_mul_hi_u32 s17, s3, s3
	s_mul_i32 s19, s3, s3
	v_mul_lo_u32 v0, s3, v1
	v_mul_lo_u32 v11, s3, v3
	v_cndmask_b32_e32 v6, v5, v6, vcc_lo
	v_cmp_gt_i32_e32 vcc_lo, 32, v7
	v_cmp_eq_f32_e64 s22, s18, 0
	s_waitcnt lgkmcnt(0)
	s_add_u32 s26, s8, s24
	s_addc_u32 s27, s9, s25
	v_cmp_gt_u32_e64 s0, s3, v3
	s_load_dword s28, s[26:27], 0x0
	s_clause 0x1
	s_load_dwordx2 s[8:9], s[4:5], 0x58
	s_load_dwordx2 s[20:21], s[4:5], 0x48
	v_cndmask_b32_e32 v7, v5, v7, vcc_lo
	v_cmp_gt_i32_e32 vcc_lo, 32, v8
	v_mov_b32_e32 v4, v2
	v_lshlrev_b32_e32 v12, 2, v6
	s_mov_b32 s7, 0
	v_lshlrev_b32_e32 v13, 2, v7
	v_cndmask_b32_e32 v8, v5, v8, vcc_lo
	v_cmp_gt_i32_e32 vcc_lo, 32, v9
	s_mul_i32 s6, s6, s3
	v_lshlrev_b32_e32 v14, 2, v8
	v_cndmask_b32_e32 v9, v5, v9, vcc_lo
	v_cmp_gt_i32_e32 vcc_lo, 32, v10
	v_lshlrev_b32_e32 v15, 2, v9
	s_waitcnt lgkmcnt(0)
	s_sub_i32 s23, s28, s2
	s_add_u32 s1, s26, 4
	s_addc_u32 s4, s27, 0
	s_add_u32 s24, s10, s24
	s_addc_u32 s5, s11, s25
	s_cmp_eq_u64 s[10:11], 0
	v_cndmask_b32_e32 v5, v5, v10, vcc_lo
	s_cselect_b32 s5, s4, s5
	s_cselect_b32 s4, s1, s24
	v_cmp_eq_u32_e64 s1, 31, v3
	s_load_dword s4, s[4:5], 0x0
	s_mul_i32 s5, s23, s17
	v_lshlrev_b32_e32 v16, 2, v5
	s_waitcnt lgkmcnt(0)
	s_sub_i32 s10, s4, s2
	s_cmp_lt_i32 s28, s4
	s_mul_hi_u32 s4, s23, s19
	s_cselect_b32 s11, -1, 0
	s_cmp_lg_u32 s29, 0
	s_cselect_b32 s24, -1, 0
	s_ashr_i32 s25, s23, 31
	s_add_i32 s4, s4, s5
	s_mul_i32 s5, s25, s19
	s_mul_i32 s25, s23, s19
	s_add_i32 s26, s4, s5
	s_lshl_b32 s27, s3, 5
	s_branch .LBB2_10
.LBB2_9:                                ;   in Loop: Header=BB2_10 Depth=1
	s_or_b32 exec_lo, exec_lo, s4
	v_add_nc_u32_e32 v1, 32, v1
	v_add_nc_u32_e32 v0, s27, v0
	v_cmp_le_i32_e32 vcc_lo, s3, v1
	s_or_b32 s7, vcc_lo, s7
	s_andn2_b32 exec_lo, exec_lo, s7
	s_cbranch_execz .LBB2_26
.LBB2_10:                               ; =>This Loop Header: Depth=1
                                        ;     Child Loop BB2_14 Depth 2
                                        ;       Child Loop BB2_17 Depth 3
	v_mov_b32_e32 v17, 0
	s_andn2_b32 vcc_lo, exec_lo, s11
	s_cbranch_vccnz .LBB2_21
; %bb.11:                               ;   in Loop: Header=BB2_10 Depth=1
	v_ashrrev_i32_e32 v5, 31, v0
	v_add_co_u32 v18, vcc_lo, s25, v0
	v_mov_b32_e32 v17, 0
	s_mov_b32 s4, s23
	v_add_co_ci_u32_e64 v19, null, s26, v5, vcc_lo
	s_branch .LBB2_14
.LBB2_12:                               ;   in Loop: Header=BB2_14 Depth=2
	s_inst_prefetch 0x2
	s_or_b32 exec_lo, exec_lo, s5
.LBB2_13:                               ;   in Loop: Header=BB2_14 Depth=2
	s_or_b32 exec_lo, exec_lo, s28
	v_add_co_u32 v18, vcc_lo, v18, s19
	v_add_co_ci_u32_e64 v19, null, s17, v19, vcc_lo
	s_add_i32 s4, s4, 1
	s_cmp_ge_i32 s4, s10
	s_cbranch_scc1 .LBB2_21
.LBB2_14:                               ;   Parent Loop BB2_10 Depth=1
                                        ; =>  This Loop Header: Depth=2
                                        ;       Child Loop BB2_17 Depth 3
	s_and_saveexec_b32 s28, s0
	s_cbranch_execz .LBB2_13
; %bb.15:                               ;   in Loop: Header=BB2_14 Depth=2
	s_ashr_i32 s5, s4, 31
	s_waitcnt lgkmcnt(0)
	v_mad_u64_u32 v[5:6], null, s19, s4, v[1:2]
	s_lshl_b64 s[30:31], s[4:5], 2
	s_mul_i32 s5, s19, s5
	s_add_u32 s30, s12, s30
	s_addc_u32 s31, s13, s31
	v_mov_b32_e32 v8, v4
	s_load_dword s29, s[30:31], 0x0
	s_mul_i32 s30, s17, s4
	v_mov_b32_e32 v20, v11
	v_mov_b32_e32 v7, v3
	v_add3_u32 v6, s5, s30, v6
	s_waitcnt lgkmcnt(0)
	s_sub_i32 s5, s29, s2
	s_mul_i32 s29, s5, s3
	s_mov_b32 s5, 0
	s_inst_prefetch 0x1
	s_branch .LBB2_17
	.p2align	6
.LBB2_16:                               ;   in Loop: Header=BB2_17 Depth=3
	v_add_nc_u32_e32 v21, s29, v7
	v_lshlrev_b64 v[9:10], 2, v[9:10]
	v_add_nc_u32_e32 v20, s27, v20
	v_ashrrev_i32_e32 v22, 31, v21
	v_add_co_u32 v9, vcc_lo, s14, v9
	v_add_co_ci_u32_e64 v10, null, s15, v10, vcc_lo
	v_lshlrev_b64 v[21:22], 2, v[21:22]
	v_add_co_u32 v21, vcc_lo, s20, v21
	v_add_co_ci_u32_e64 v22, null, s21, v22, vcc_lo
	v_add_co_u32 v7, vcc_lo, v7, 32
	global_load_dword v9, v[9:10], off
	global_load_dword v10, v[21:22], off
	v_add_co_ci_u32_e64 v8, null, 0, v8, vcc_lo
	v_cmp_le_i32_e32 vcc_lo, s3, v7
	s_or_b32 s5, vcc_lo, s5
	s_waitcnt vmcnt(0)
	v_fmac_f32_e32 v17, v9, v10
	s_andn2_b32 exec_lo, exec_lo, s5
	s_cbranch_execz .LBB2_12
.LBB2_17:                               ;   Parent Loop BB2_10 Depth=1
                                        ;     Parent Loop BB2_14 Depth=2
                                        ; =>    This Inner Loop Header: Depth=3
	s_and_b32 vcc_lo, exec_lo, s24
	s_cbranch_vccz .LBB2_19
; %bb.18:                               ;   in Loop: Header=BB2_17 Depth=3
	v_ashrrev_i32_e32 v10, 31, v20
	v_add_co_u32 v9, vcc_lo, v5, v20
	v_add_co_ci_u32_e64 v10, null, v6, v10, vcc_lo
	s_cbranch_execnz .LBB2_16
	s_branch .LBB2_20
.LBB2_19:                               ;   in Loop: Header=BB2_17 Depth=3
                                        ; implicit-def: $vgpr9_vgpr10
.LBB2_20:                               ;   in Loop: Header=BB2_17 Depth=3
	v_add_co_u32 v9, vcc_lo, v18, v7
	v_add_co_ci_u32_e64 v10, null, v19, v8, vcc_lo
	s_branch .LBB2_16
.LBB2_21:                               ;   in Loop: Header=BB2_10 Depth=1
	ds_bpermute_b32 v5, v12, v17
	s_waitcnt lgkmcnt(0)
	v_add_f32_e32 v5, v17, v5
	ds_bpermute_b32 v6, v13, v5
	s_waitcnt lgkmcnt(0)
	v_add_f32_e32 v5, v5, v6
	;; [unrolled: 3-line block ×4, first 2 shown]
	ds_bpermute_b32 v6, v16, v5
	s_and_saveexec_b32 s4, s1
	s_cbranch_execz .LBB2_9
; %bb.22:                               ;   in Loop: Header=BB2_10 Depth=1
	s_waitcnt lgkmcnt(0)
	v_add_f32_e32 v6, v5, v6
	v_add_nc_u32_e32 v5, s6, v1
	s_and_b32 vcc_lo, exec_lo, s22
	v_mul_f32_e32 v7, s16, v6
	v_ashrrev_i32_e32 v6, 31, v5
	s_cbranch_vccz .LBB2_24
; %bb.23:                               ;   in Loop: Header=BB2_10 Depth=1
	v_lshlrev_b64 v[8:9], 2, v[5:6]
	v_add_co_u32 v8, vcc_lo, s8, v8
	v_add_co_ci_u32_e64 v9, null, s9, v9, vcc_lo
	global_store_dword v[8:9], v7, off
	s_cbranch_execnz .LBB2_9
	s_branch .LBB2_25
.LBB2_24:                               ;   in Loop: Header=BB2_10 Depth=1
.LBB2_25:                               ;   in Loop: Header=BB2_10 Depth=1
	v_lshlrev_b64 v[5:6], 2, v[5:6]
	v_add_co_u32 v5, vcc_lo, s8, v5
	v_add_co_ci_u32_e64 v6, null, s9, v6, vcc_lo
	global_load_dword v8, v[5:6], off
	s_waitcnt vmcnt(0)
	v_fmac_f32_e32 v7, s18, v8
	global_store_dword v[5:6], v7, off
	s_branch .LBB2_9
.LBB2_26:
	s_endpgm
	.section	.rodata,"a",@progbits
	.p2align	6, 0x0
	.amdhsa_kernel _ZN9rocsparseL22bsrxmvn_general_kernelILj1024ELj32EfiifffEEv20rocsparse_direction_NS_24const_host_device_scalarIT1_EET3_PKS5_PKT2_SA_S7_PKT4_S5_PKT5_S4_PT6_21rocsparse_index_base_b
		.amdhsa_group_segment_fixed_size 0
		.amdhsa_private_segment_fixed_size 0
		.amdhsa_kernarg_size 104
		.amdhsa_user_sgpr_count 6
		.amdhsa_user_sgpr_private_segment_buffer 1
		.amdhsa_user_sgpr_dispatch_ptr 0
		.amdhsa_user_sgpr_queue_ptr 0
		.amdhsa_user_sgpr_kernarg_segment_ptr 1
		.amdhsa_user_sgpr_dispatch_id 0
		.amdhsa_user_sgpr_flat_scratch_init 0
		.amdhsa_user_sgpr_private_segment_size 0
		.amdhsa_wavefront_size32 1
		.amdhsa_uses_dynamic_stack 0
		.amdhsa_system_sgpr_private_segment_wavefront_offset 0
		.amdhsa_system_sgpr_workgroup_id_x 1
		.amdhsa_system_sgpr_workgroup_id_y 0
		.amdhsa_system_sgpr_workgroup_id_z 0
		.amdhsa_system_sgpr_workgroup_info 0
		.amdhsa_system_vgpr_workitem_id 0
		.amdhsa_next_free_vgpr 23
		.amdhsa_next_free_sgpr 32
		.amdhsa_reserve_vcc 1
		.amdhsa_reserve_flat_scratch 0
		.amdhsa_float_round_mode_32 0
		.amdhsa_float_round_mode_16_64 0
		.amdhsa_float_denorm_mode_32 3
		.amdhsa_float_denorm_mode_16_64 3
		.amdhsa_dx10_clamp 1
		.amdhsa_ieee_mode 1
		.amdhsa_fp16_overflow 0
		.amdhsa_workgroup_processor_mode 1
		.amdhsa_memory_ordered 1
		.amdhsa_forward_progress 1
		.amdhsa_shared_vgpr_count 0
		.amdhsa_exception_fp_ieee_invalid_op 0
		.amdhsa_exception_fp_denorm_src 0
		.amdhsa_exception_fp_ieee_div_zero 0
		.amdhsa_exception_fp_ieee_overflow 0
		.amdhsa_exception_fp_ieee_underflow 0
		.amdhsa_exception_fp_ieee_inexact 0
		.amdhsa_exception_int_div_zero 0
	.end_amdhsa_kernel
	.section	.text._ZN9rocsparseL22bsrxmvn_general_kernelILj1024ELj32EfiifffEEv20rocsparse_direction_NS_24const_host_device_scalarIT1_EET3_PKS5_PKT2_SA_S7_PKT4_S5_PKT5_S4_PT6_21rocsparse_index_base_b,"axG",@progbits,_ZN9rocsparseL22bsrxmvn_general_kernelILj1024ELj32EfiifffEEv20rocsparse_direction_NS_24const_host_device_scalarIT1_EET3_PKS5_PKT2_SA_S7_PKT4_S5_PKT5_S4_PT6_21rocsparse_index_base_b,comdat
.Lfunc_end2:
	.size	_ZN9rocsparseL22bsrxmvn_general_kernelILj1024ELj32EfiifffEEv20rocsparse_direction_NS_24const_host_device_scalarIT1_EET3_PKS5_PKT2_SA_S7_PKT4_S5_PKT5_S4_PT6_21rocsparse_index_base_b, .Lfunc_end2-_ZN9rocsparseL22bsrxmvn_general_kernelILj1024ELj32EfiifffEEv20rocsparse_direction_NS_24const_host_device_scalarIT1_EET3_PKS5_PKT2_SA_S7_PKT4_S5_PKT5_S4_PT6_21rocsparse_index_base_b
                                        ; -- End function
	.set _ZN9rocsparseL22bsrxmvn_general_kernelILj1024ELj32EfiifffEEv20rocsparse_direction_NS_24const_host_device_scalarIT1_EET3_PKS5_PKT2_SA_S7_PKT4_S5_PKT5_S4_PT6_21rocsparse_index_base_b.num_vgpr, 23
	.set _ZN9rocsparseL22bsrxmvn_general_kernelILj1024ELj32EfiifffEEv20rocsparse_direction_NS_24const_host_device_scalarIT1_EET3_PKS5_PKT2_SA_S7_PKT4_S5_PKT5_S4_PT6_21rocsparse_index_base_b.num_agpr, 0
	.set _ZN9rocsparseL22bsrxmvn_general_kernelILj1024ELj32EfiifffEEv20rocsparse_direction_NS_24const_host_device_scalarIT1_EET3_PKS5_PKT2_SA_S7_PKT4_S5_PKT5_S4_PT6_21rocsparse_index_base_b.numbered_sgpr, 32
	.set _ZN9rocsparseL22bsrxmvn_general_kernelILj1024ELj32EfiifffEEv20rocsparse_direction_NS_24const_host_device_scalarIT1_EET3_PKS5_PKT2_SA_S7_PKT4_S5_PKT5_S4_PT6_21rocsparse_index_base_b.num_named_barrier, 0
	.set _ZN9rocsparseL22bsrxmvn_general_kernelILj1024ELj32EfiifffEEv20rocsparse_direction_NS_24const_host_device_scalarIT1_EET3_PKS5_PKT2_SA_S7_PKT4_S5_PKT5_S4_PT6_21rocsparse_index_base_b.private_seg_size, 0
	.set _ZN9rocsparseL22bsrxmvn_general_kernelILj1024ELj32EfiifffEEv20rocsparse_direction_NS_24const_host_device_scalarIT1_EET3_PKS5_PKT2_SA_S7_PKT4_S5_PKT5_S4_PT6_21rocsparse_index_base_b.uses_vcc, 1
	.set _ZN9rocsparseL22bsrxmvn_general_kernelILj1024ELj32EfiifffEEv20rocsparse_direction_NS_24const_host_device_scalarIT1_EET3_PKS5_PKT2_SA_S7_PKT4_S5_PKT5_S4_PT6_21rocsparse_index_base_b.uses_flat_scratch, 0
	.set _ZN9rocsparseL22bsrxmvn_general_kernelILj1024ELj32EfiifffEEv20rocsparse_direction_NS_24const_host_device_scalarIT1_EET3_PKS5_PKT2_SA_S7_PKT4_S5_PKT5_S4_PT6_21rocsparse_index_base_b.has_dyn_sized_stack, 0
	.set _ZN9rocsparseL22bsrxmvn_general_kernelILj1024ELj32EfiifffEEv20rocsparse_direction_NS_24const_host_device_scalarIT1_EET3_PKS5_PKT2_SA_S7_PKT4_S5_PKT5_S4_PT6_21rocsparse_index_base_b.has_recursion, 0
	.set _ZN9rocsparseL22bsrxmvn_general_kernelILj1024ELj32EfiifffEEv20rocsparse_direction_NS_24const_host_device_scalarIT1_EET3_PKS5_PKT2_SA_S7_PKT4_S5_PKT5_S4_PT6_21rocsparse_index_base_b.has_indirect_call, 0
	.section	.AMDGPU.csdata,"",@progbits
; Kernel info:
; codeLenInByte = 1144
; TotalNumSgprs: 34
; NumVgprs: 23
; ScratchSize: 0
; MemoryBound: 0
; FloatMode: 240
; IeeeMode: 1
; LDSByteSize: 0 bytes/workgroup (compile time only)
; SGPRBlocks: 0
; VGPRBlocks: 2
; NumSGPRsForWavesPerEU: 34
; NumVGPRsForWavesPerEU: 23
; Occupancy: 16
; WaveLimiterHint : 1
; COMPUTE_PGM_RSRC2:SCRATCH_EN: 0
; COMPUTE_PGM_RSRC2:USER_SGPR: 6
; COMPUTE_PGM_RSRC2:TRAP_HANDLER: 0
; COMPUTE_PGM_RSRC2:TGID_X_EN: 1
; COMPUTE_PGM_RSRC2:TGID_Y_EN: 0
; COMPUTE_PGM_RSRC2:TGID_Z_EN: 0
; COMPUTE_PGM_RSRC2:TIDIG_COMP_CNT: 0
	.section	.text._ZN9rocsparseL22bsrxmvn_general_kernelILj64ELj8EdiidddEEv20rocsparse_direction_NS_24const_host_device_scalarIT1_EET3_PKS5_PKT2_SA_S7_PKT4_S5_PKT5_S4_PT6_21rocsparse_index_base_b,"axG",@progbits,_ZN9rocsparseL22bsrxmvn_general_kernelILj64ELj8EdiidddEEv20rocsparse_direction_NS_24const_host_device_scalarIT1_EET3_PKS5_PKT2_SA_S7_PKT4_S5_PKT5_S4_PT6_21rocsparse_index_base_b,comdat
	.globl	_ZN9rocsparseL22bsrxmvn_general_kernelILj64ELj8EdiidddEEv20rocsparse_direction_NS_24const_host_device_scalarIT1_EET3_PKS5_PKT2_SA_S7_PKT4_S5_PKT5_S4_PT6_21rocsparse_index_base_b ; -- Begin function _ZN9rocsparseL22bsrxmvn_general_kernelILj64ELj8EdiidddEEv20rocsparse_direction_NS_24const_host_device_scalarIT1_EET3_PKS5_PKT2_SA_S7_PKT4_S5_PKT5_S4_PT6_21rocsparse_index_base_b
	.p2align	8
	.type	_ZN9rocsparseL22bsrxmvn_general_kernelILj64ELj8EdiidddEEv20rocsparse_direction_NS_24const_host_device_scalarIT1_EET3_PKS5_PKT2_SA_S7_PKT4_S5_PKT5_S4_PT6_21rocsparse_index_base_b,@function
_ZN9rocsparseL22bsrxmvn_general_kernelILj64ELj8EdiidddEEv20rocsparse_direction_NS_24const_host_device_scalarIT1_EET3_PKS5_PKT2_SA_S7_PKT4_S5_PKT5_S4_PT6_21rocsparse_index_base_b: ; @_ZN9rocsparseL22bsrxmvn_general_kernelILj64ELj8EdiidddEEv20rocsparse_direction_NS_24const_host_device_scalarIT1_EET3_PKS5_PKT2_SA_S7_PKT4_S5_PKT5_S4_PT6_21rocsparse_index_base_b
; %bb.0:
	s_clause 0x2
	s_load_dwordx2 s[16:17], s[4:5], 0x60
	s_load_dwordx2 s[2:3], s[4:5], 0x8
	;; [unrolled: 1-line block ×3, first 2 shown]
	s_waitcnt lgkmcnt(0)
	s_bitcmp1_b32 s17, 0
	v_mov_b32_e32 v1, s2
	v_mov_b32_e32 v2, s3
	s_cselect_b32 s7, -1, 0
	s_and_b32 vcc_lo, exec_lo, s7
	s_xor_b32 s7, s7, -1
	s_cbranch_vccnz .LBB3_2
; %bb.1:
	v_mov_b32_e32 v1, s2
	v_mov_b32_e32 v2, s3
	flat_load_dwordx2 v[1:2], v[1:2]
.LBB3_2:
	v_mov_b32_e32 v4, s1
	v_mov_b32_e32 v3, s0
	s_andn2_b32 vcc_lo, exec_lo, s7
	s_cbranch_vccnz .LBB3_4
; %bb.3:
	v_mov_b32_e32 v4, s1
	v_mov_b32_e32 v3, s0
	flat_load_dwordx2 v[3:4], v[3:4]
.LBB3_4:
	s_waitcnt vmcnt(0) lgkmcnt(0)
	v_cmp_neq_f64_e32 vcc_lo, 0, v[1:2]
	v_cmp_neq_f64_e64 s0, 1.0, v[3:4]
	s_or_b32 s0, vcc_lo, s0
	s_and_saveexec_b32 s1, s0
	s_cbranch_execz .LBB3_26
; %bb.5:
	s_load_dwordx2 s[0:1], s[4:5], 0x18
	s_waitcnt lgkmcnt(0)
	s_cmp_eq_u64 s[0:1], 0
	s_cbranch_scc1 .LBB3_7
; %bb.6:
	s_ashr_i32 s7, s6, 31
	s_lshl_b64 s[2:3], s[6:7], 2
	s_add_u32 s0, s0, s2
	s_addc_u32 s1, s1, s3
	s_load_dword s0, s[0:1], 0x0
	s_waitcnt lgkmcnt(0)
	s_sub_i32 s6, s0, s16
.LBB3_7:
	s_load_dword s3, s[4:5], 0x40
	v_lshrrev_b32_e32 v5, 3, v0
	s_waitcnt lgkmcnt(0)
	v_cmp_gt_i32_e32 vcc_lo, s3, v5
	s_and_b32 exec_lo, exec_lo, vcc_lo
	s_cbranch_execz .LBB3_26
; %bb.8:
	s_load_dwordx8 s[8:15], s[4:5], 0x20
	s_ashr_i32 s7, s6, 31
	s_load_dword s25, s[4:5], 0x0
	s_lshl_b64 s[0:1], s[6:7], 2
	v_mbcnt_lo_u32_b32 v8, -1, 0
	v_and_b32_e32 v7, 7, v0
	v_mov_b32_e32 v6, 0
	s_mul_hi_u32 s17, s3, s3
	s_mul_i32 s20, s3, s3
	v_xor_b32_e32 v9, 4, v8
	v_xor_b32_e32 v10, 2, v8
	;; [unrolled: 1-line block ×3, first 2 shown]
	v_mul_lo_u32 v0, s3, v5
	v_mul_lo_u32 v17, s3, v7
	v_cmp_gt_i32_e32 vcc_lo, 32, v9
	s_mov_b32 s7, 0
	s_mul_i32 s6, s6, s3
	v_cndmask_b32_e32 v9, v8, v9, vcc_lo
	s_waitcnt lgkmcnt(0)
	s_add_u32 s22, s8, s0
	s_addc_u32 s23, s9, s1
	v_cmp_gt_i32_e32 vcc_lo, 32, v10
	s_load_dword s24, s[22:23], 0x0
	s_clause 0x1
	s_load_dwordx2 s[8:9], s[4:5], 0x58
	s_load_dwordx2 s[18:19], s[4:5], 0x48
	v_lshlrev_b32_e32 v18, 2, v9
	v_cndmask_b32_e32 v10, v8, v10, vcc_lo
	v_cmp_gt_i32_e32 vcc_lo, 32, v11
	v_lshlrev_b32_e32 v19, 2, v10
	v_cndmask_b32_e32 v11, v8, v11, vcc_lo
	v_mov_b32_e32 v8, v6
	v_lshlrev_b32_e32 v20, 2, v11
	s_waitcnt lgkmcnt(0)
	s_sub_i32 s21, s24, s16
	s_add_u32 s2, s22, 4
	s_addc_u32 s4, s23, 0
	s_add_u32 s22, s10, s0
	s_addc_u32 s1, s11, s1
	s_cmp_eq_u64 s[10:11], 0
	v_cmp_eq_f64_e64 s0, 0, v[3:4]
	s_cselect_b32 s5, s4, s1
	s_cselect_b32 s4, s2, s22
	v_cmp_gt_u32_e64 s1, s3, v7
	s_load_dword s4, s[4:5], 0x0
	s_mul_i32 s5, s21, s17
	v_cmp_eq_u32_e64 s2, 7, v7
	s_waitcnt lgkmcnt(0)
	s_sub_i32 s10, s4, s16
	s_cmp_lt_i32 s24, s4
	s_mul_hi_u32 s4, s21, s20
	s_cselect_b32 s11, -1, 0
	s_cmp_lg_u32 s25, 0
	s_cselect_b32 s22, -1, 0
	s_ashr_i32 s23, s21, 31
	s_add_i32 s4, s4, s5
	s_mul_i32 s5, s23, s20
	s_mul_i32 s23, s21, s20
	s_add_i32 s24, s4, s5
	s_lshl_b32 s25, s3, 3
	s_branch .LBB3_10
.LBB3_9:                                ;   in Loop: Header=BB3_10 Depth=1
	s_or_b32 exec_lo, exec_lo, s4
	v_add_nc_u32_e32 v5, 8, v5
	v_add_nc_u32_e32 v0, s25, v0
	v_cmp_le_i32_e32 vcc_lo, s3, v5
	s_or_b32 s7, vcc_lo, s7
	s_andn2_b32 exec_lo, exec_lo, s7
	s_cbranch_execz .LBB3_26
.LBB3_10:                               ; =>This Loop Header: Depth=1
                                        ;     Child Loop BB3_14 Depth 2
                                        ;       Child Loop BB3_17 Depth 3
	v_mov_b32_e32 v9, 0
	v_mov_b32_e32 v10, 0
	s_andn2_b32 vcc_lo, exec_lo, s11
	s_cbranch_vccnz .LBB3_21
; %bb.11:                               ;   in Loop: Header=BB3_10 Depth=1
	s_waitcnt lgkmcnt(1)
	v_ashrrev_i32_e32 v11, 31, v0
	v_add_co_u32 v21, vcc_lo, s23, v0
	v_mov_b32_e32 v9, 0
	v_mov_b32_e32 v10, 0
	v_add_co_ci_u32_e64 v22, null, s24, v11, vcc_lo
	s_mov_b32 s4, s21
	s_branch .LBB3_14
.LBB3_12:                               ;   in Loop: Header=BB3_14 Depth=2
	s_inst_prefetch 0x2
	s_or_b32 exec_lo, exec_lo, s5
.LBB3_13:                               ;   in Loop: Header=BB3_14 Depth=2
	s_or_b32 exec_lo, exec_lo, s26
	v_add_co_u32 v21, vcc_lo, v21, s20
	v_add_co_ci_u32_e64 v22, null, s17, v22, vcc_lo
	s_add_i32 s4, s4, 1
	s_cmp_ge_i32 s4, s10
	s_cbranch_scc1 .LBB3_21
.LBB3_14:                               ;   Parent Loop BB3_10 Depth=1
                                        ; =>  This Loop Header: Depth=2
                                        ;       Child Loop BB3_17 Depth 3
	s_and_saveexec_b32 s26, s1
	s_cbranch_execz .LBB3_13
; %bb.15:                               ;   in Loop: Header=BB3_14 Depth=2
	s_ashr_i32 s5, s4, 31
	s_waitcnt lgkmcnt(0)
	v_mad_u64_u32 v[11:12], null, s20, s4, v[5:6]
	s_lshl_b64 s[28:29], s[4:5], 2
	s_mul_i32 s5, s20, s5
	s_add_u32 s28, s12, s28
	s_addc_u32 s29, s13, s29
	v_mov_b32_e32 v14, v8
	s_load_dword s27, s[28:29], 0x0
	s_mul_i32 s28, s17, s4
	v_mov_b32_e32 v23, v17
	v_mov_b32_e32 v13, v7
	v_add3_u32 v12, s5, s28, v12
	s_waitcnt lgkmcnt(0)
	s_sub_i32 s5, s27, s16
	s_mul_i32 s27, s5, s3
	s_mov_b32 s5, 0
	s_inst_prefetch 0x1
	s_branch .LBB3_17
	.p2align	6
.LBB3_16:                               ;   in Loop: Header=BB3_17 Depth=3
	v_add_nc_u32_e32 v24, s27, v13
	v_lshlrev_b64 v[15:16], 3, v[15:16]
	v_add_nc_u32_e32 v23, s25, v23
	v_ashrrev_i32_e32 v25, 31, v24
	v_add_co_u32 v15, vcc_lo, s14, v15
	v_add_co_ci_u32_e64 v16, null, s15, v16, vcc_lo
	v_lshlrev_b64 v[24:25], 3, v[24:25]
	v_add_co_u32 v24, vcc_lo, s18, v24
	v_add_co_ci_u32_e64 v25, null, s19, v25, vcc_lo
	v_add_co_u32 v13, vcc_lo, v13, 8
	global_load_dwordx2 v[15:16], v[15:16], off
	global_load_dwordx2 v[24:25], v[24:25], off
	v_add_co_ci_u32_e64 v14, null, 0, v14, vcc_lo
	v_cmp_le_i32_e32 vcc_lo, s3, v13
	s_or_b32 s5, vcc_lo, s5
	s_waitcnt vmcnt(0)
	v_fma_f64 v[9:10], v[15:16], v[24:25], v[9:10]
	s_andn2_b32 exec_lo, exec_lo, s5
	s_cbranch_execz .LBB3_12
.LBB3_17:                               ;   Parent Loop BB3_10 Depth=1
                                        ;     Parent Loop BB3_14 Depth=2
                                        ; =>    This Inner Loop Header: Depth=3
	s_and_b32 vcc_lo, exec_lo, s22
	s_cbranch_vccz .LBB3_19
; %bb.18:                               ;   in Loop: Header=BB3_17 Depth=3
	v_ashrrev_i32_e32 v16, 31, v23
	v_add_co_u32 v15, vcc_lo, v11, v23
	v_add_co_ci_u32_e64 v16, null, v12, v16, vcc_lo
	s_cbranch_execnz .LBB3_16
	s_branch .LBB3_20
.LBB3_19:                               ;   in Loop: Header=BB3_17 Depth=3
                                        ; implicit-def: $vgpr15_vgpr16
.LBB3_20:                               ;   in Loop: Header=BB3_17 Depth=3
	v_add_co_u32 v15, vcc_lo, v21, v13
	v_add_co_ci_u32_e64 v16, null, v22, v14, vcc_lo
	s_branch .LBB3_16
.LBB3_21:                               ;   in Loop: Header=BB3_10 Depth=1
	s_waitcnt lgkmcnt(1)
	ds_bpermute_b32 v11, v18, v9
	s_waitcnt lgkmcnt(1)
	ds_bpermute_b32 v12, v18, v10
	s_waitcnt lgkmcnt(0)
	v_add_f64 v[9:10], v[9:10], v[11:12]
	ds_bpermute_b32 v11, v19, v9
	ds_bpermute_b32 v12, v19, v10
	s_waitcnt lgkmcnt(0)
	v_add_f64 v[9:10], v[9:10], v[11:12]
	ds_bpermute_b32 v11, v20, v9
	ds_bpermute_b32 v12, v20, v10
	s_and_saveexec_b32 s4, s2
	s_cbranch_execz .LBB3_9
; %bb.22:                               ;   in Loop: Header=BB3_10 Depth=1
	s_waitcnt lgkmcnt(0)
	v_add_f64 v[9:10], v[9:10], v[11:12]
	v_add_nc_u32_e32 v11, s6, v5
	v_ashrrev_i32_e32 v12, 31, v11
	v_mul_f64 v[9:10], v[1:2], v[9:10]
	s_and_saveexec_b32 s5, s0
	s_xor_b32 s5, exec_lo, s5
	s_cbranch_execz .LBB3_24
; %bb.23:                               ;   in Loop: Header=BB3_10 Depth=1
	v_lshlrev_b64 v[11:12], 3, v[11:12]
	v_add_co_u32 v11, vcc_lo, s8, v11
	v_add_co_ci_u32_e64 v12, null, s9, v12, vcc_lo
	global_store_dwordx2 v[11:12], v[9:10], off
                                        ; implicit-def: $vgpr11
                                        ; implicit-def: $vgpr9_vgpr10
.LBB3_24:                               ;   in Loop: Header=BB3_10 Depth=1
	s_andn2_saveexec_b32 s5, s5
	s_cbranch_execz .LBB3_9
; %bb.25:                               ;   in Loop: Header=BB3_10 Depth=1
	v_lshlrev_b64 v[11:12], 3, v[11:12]
	v_add_co_u32 v11, vcc_lo, s8, v11
	v_add_co_ci_u32_e64 v12, null, s9, v12, vcc_lo
	global_load_dwordx2 v[13:14], v[11:12], off
	s_waitcnt vmcnt(0)
	v_fma_f64 v[9:10], v[3:4], v[13:14], v[9:10]
	global_store_dwordx2 v[11:12], v[9:10], off
	s_branch .LBB3_9
.LBB3_26:
	s_endpgm
	.section	.rodata,"a",@progbits
	.p2align	6, 0x0
	.amdhsa_kernel _ZN9rocsparseL22bsrxmvn_general_kernelILj64ELj8EdiidddEEv20rocsparse_direction_NS_24const_host_device_scalarIT1_EET3_PKS5_PKT2_SA_S7_PKT4_S5_PKT5_S4_PT6_21rocsparse_index_base_b
		.amdhsa_group_segment_fixed_size 0
		.amdhsa_private_segment_fixed_size 0
		.amdhsa_kernarg_size 104
		.amdhsa_user_sgpr_count 6
		.amdhsa_user_sgpr_private_segment_buffer 1
		.amdhsa_user_sgpr_dispatch_ptr 0
		.amdhsa_user_sgpr_queue_ptr 0
		.amdhsa_user_sgpr_kernarg_segment_ptr 1
		.amdhsa_user_sgpr_dispatch_id 0
		.amdhsa_user_sgpr_flat_scratch_init 0
		.amdhsa_user_sgpr_private_segment_size 0
		.amdhsa_wavefront_size32 1
		.amdhsa_uses_dynamic_stack 0
		.amdhsa_system_sgpr_private_segment_wavefront_offset 0
		.amdhsa_system_sgpr_workgroup_id_x 1
		.amdhsa_system_sgpr_workgroup_id_y 0
		.amdhsa_system_sgpr_workgroup_id_z 0
		.amdhsa_system_sgpr_workgroup_info 0
		.amdhsa_system_vgpr_workitem_id 0
		.amdhsa_next_free_vgpr 26
		.amdhsa_next_free_sgpr 30
		.amdhsa_reserve_vcc 1
		.amdhsa_reserve_flat_scratch 0
		.amdhsa_float_round_mode_32 0
		.amdhsa_float_round_mode_16_64 0
		.amdhsa_float_denorm_mode_32 3
		.amdhsa_float_denorm_mode_16_64 3
		.amdhsa_dx10_clamp 1
		.amdhsa_ieee_mode 1
		.amdhsa_fp16_overflow 0
		.amdhsa_workgroup_processor_mode 1
		.amdhsa_memory_ordered 1
		.amdhsa_forward_progress 1
		.amdhsa_shared_vgpr_count 0
		.amdhsa_exception_fp_ieee_invalid_op 0
		.amdhsa_exception_fp_denorm_src 0
		.amdhsa_exception_fp_ieee_div_zero 0
		.amdhsa_exception_fp_ieee_overflow 0
		.amdhsa_exception_fp_ieee_underflow 0
		.amdhsa_exception_fp_ieee_inexact 0
		.amdhsa_exception_int_div_zero 0
	.end_amdhsa_kernel
	.section	.text._ZN9rocsparseL22bsrxmvn_general_kernelILj64ELj8EdiidddEEv20rocsparse_direction_NS_24const_host_device_scalarIT1_EET3_PKS5_PKT2_SA_S7_PKT4_S5_PKT5_S4_PT6_21rocsparse_index_base_b,"axG",@progbits,_ZN9rocsparseL22bsrxmvn_general_kernelILj64ELj8EdiidddEEv20rocsparse_direction_NS_24const_host_device_scalarIT1_EET3_PKS5_PKT2_SA_S7_PKT4_S5_PKT5_S4_PT6_21rocsparse_index_base_b,comdat
.Lfunc_end3:
	.size	_ZN9rocsparseL22bsrxmvn_general_kernelILj64ELj8EdiidddEEv20rocsparse_direction_NS_24const_host_device_scalarIT1_EET3_PKS5_PKT2_SA_S7_PKT4_S5_PKT5_S4_PT6_21rocsparse_index_base_b, .Lfunc_end3-_ZN9rocsparseL22bsrxmvn_general_kernelILj64ELj8EdiidddEEv20rocsparse_direction_NS_24const_host_device_scalarIT1_EET3_PKS5_PKT2_SA_S7_PKT4_S5_PKT5_S4_PT6_21rocsparse_index_base_b
                                        ; -- End function
	.set _ZN9rocsparseL22bsrxmvn_general_kernelILj64ELj8EdiidddEEv20rocsparse_direction_NS_24const_host_device_scalarIT1_EET3_PKS5_PKT2_SA_S7_PKT4_S5_PKT5_S4_PT6_21rocsparse_index_base_b.num_vgpr, 26
	.set _ZN9rocsparseL22bsrxmvn_general_kernelILj64ELj8EdiidddEEv20rocsparse_direction_NS_24const_host_device_scalarIT1_EET3_PKS5_PKT2_SA_S7_PKT4_S5_PKT5_S4_PT6_21rocsparse_index_base_b.num_agpr, 0
	.set _ZN9rocsparseL22bsrxmvn_general_kernelILj64ELj8EdiidddEEv20rocsparse_direction_NS_24const_host_device_scalarIT1_EET3_PKS5_PKT2_SA_S7_PKT4_S5_PKT5_S4_PT6_21rocsparse_index_base_b.numbered_sgpr, 30
	.set _ZN9rocsparseL22bsrxmvn_general_kernelILj64ELj8EdiidddEEv20rocsparse_direction_NS_24const_host_device_scalarIT1_EET3_PKS5_PKT2_SA_S7_PKT4_S5_PKT5_S4_PT6_21rocsparse_index_base_b.num_named_barrier, 0
	.set _ZN9rocsparseL22bsrxmvn_general_kernelILj64ELj8EdiidddEEv20rocsparse_direction_NS_24const_host_device_scalarIT1_EET3_PKS5_PKT2_SA_S7_PKT4_S5_PKT5_S4_PT6_21rocsparse_index_base_b.private_seg_size, 0
	.set _ZN9rocsparseL22bsrxmvn_general_kernelILj64ELj8EdiidddEEv20rocsparse_direction_NS_24const_host_device_scalarIT1_EET3_PKS5_PKT2_SA_S7_PKT4_S5_PKT5_S4_PT6_21rocsparse_index_base_b.uses_vcc, 1
	.set _ZN9rocsparseL22bsrxmvn_general_kernelILj64ELj8EdiidddEEv20rocsparse_direction_NS_24const_host_device_scalarIT1_EET3_PKS5_PKT2_SA_S7_PKT4_S5_PKT5_S4_PT6_21rocsparse_index_base_b.uses_flat_scratch, 0
	.set _ZN9rocsparseL22bsrxmvn_general_kernelILj64ELj8EdiidddEEv20rocsparse_direction_NS_24const_host_device_scalarIT1_EET3_PKS5_PKT2_SA_S7_PKT4_S5_PKT5_S4_PT6_21rocsparse_index_base_b.has_dyn_sized_stack, 0
	.set _ZN9rocsparseL22bsrxmvn_general_kernelILj64ELj8EdiidddEEv20rocsparse_direction_NS_24const_host_device_scalarIT1_EET3_PKS5_PKT2_SA_S7_PKT4_S5_PKT5_S4_PT6_21rocsparse_index_base_b.has_recursion, 0
	.set _ZN9rocsparseL22bsrxmvn_general_kernelILj64ELj8EdiidddEEv20rocsparse_direction_NS_24const_host_device_scalarIT1_EET3_PKS5_PKT2_SA_S7_PKT4_S5_PKT5_S4_PT6_21rocsparse_index_base_b.has_indirect_call, 0
	.section	.AMDGPU.csdata,"",@progbits
; Kernel info:
; codeLenInByte = 1172
; TotalNumSgprs: 32
; NumVgprs: 26
; ScratchSize: 0
; MemoryBound: 0
; FloatMode: 240
; IeeeMode: 1
; LDSByteSize: 0 bytes/workgroup (compile time only)
; SGPRBlocks: 0
; VGPRBlocks: 3
; NumSGPRsForWavesPerEU: 32
; NumVGPRsForWavesPerEU: 26
; Occupancy: 16
; WaveLimiterHint : 1
; COMPUTE_PGM_RSRC2:SCRATCH_EN: 0
; COMPUTE_PGM_RSRC2:USER_SGPR: 6
; COMPUTE_PGM_RSRC2:TRAP_HANDLER: 0
; COMPUTE_PGM_RSRC2:TGID_X_EN: 1
; COMPUTE_PGM_RSRC2:TGID_Y_EN: 0
; COMPUTE_PGM_RSRC2:TGID_Z_EN: 0
; COMPUTE_PGM_RSRC2:TIDIG_COMP_CNT: 0
	.section	.text._ZN9rocsparseL22bsrxmvn_general_kernelILj256ELj16EdiidddEEv20rocsparse_direction_NS_24const_host_device_scalarIT1_EET3_PKS5_PKT2_SA_S7_PKT4_S5_PKT5_S4_PT6_21rocsparse_index_base_b,"axG",@progbits,_ZN9rocsparseL22bsrxmvn_general_kernelILj256ELj16EdiidddEEv20rocsparse_direction_NS_24const_host_device_scalarIT1_EET3_PKS5_PKT2_SA_S7_PKT4_S5_PKT5_S4_PT6_21rocsparse_index_base_b,comdat
	.globl	_ZN9rocsparseL22bsrxmvn_general_kernelILj256ELj16EdiidddEEv20rocsparse_direction_NS_24const_host_device_scalarIT1_EET3_PKS5_PKT2_SA_S7_PKT4_S5_PKT5_S4_PT6_21rocsparse_index_base_b ; -- Begin function _ZN9rocsparseL22bsrxmvn_general_kernelILj256ELj16EdiidddEEv20rocsparse_direction_NS_24const_host_device_scalarIT1_EET3_PKS5_PKT2_SA_S7_PKT4_S5_PKT5_S4_PT6_21rocsparse_index_base_b
	.p2align	8
	.type	_ZN9rocsparseL22bsrxmvn_general_kernelILj256ELj16EdiidddEEv20rocsparse_direction_NS_24const_host_device_scalarIT1_EET3_PKS5_PKT2_SA_S7_PKT4_S5_PKT5_S4_PT6_21rocsparse_index_base_b,@function
_ZN9rocsparseL22bsrxmvn_general_kernelILj256ELj16EdiidddEEv20rocsparse_direction_NS_24const_host_device_scalarIT1_EET3_PKS5_PKT2_SA_S7_PKT4_S5_PKT5_S4_PT6_21rocsparse_index_base_b: ; @_ZN9rocsparseL22bsrxmvn_general_kernelILj256ELj16EdiidddEEv20rocsparse_direction_NS_24const_host_device_scalarIT1_EET3_PKS5_PKT2_SA_S7_PKT4_S5_PKT5_S4_PT6_21rocsparse_index_base_b
; %bb.0:
	s_clause 0x2
	s_load_dwordx2 s[16:17], s[4:5], 0x60
	s_load_dwordx2 s[2:3], s[4:5], 0x8
	;; [unrolled: 1-line block ×3, first 2 shown]
	s_waitcnt lgkmcnt(0)
	s_bitcmp1_b32 s17, 0
	v_mov_b32_e32 v1, s2
	v_mov_b32_e32 v2, s3
	s_cselect_b32 s7, -1, 0
	s_and_b32 vcc_lo, exec_lo, s7
	s_xor_b32 s7, s7, -1
	s_cbranch_vccnz .LBB4_2
; %bb.1:
	v_mov_b32_e32 v1, s2
	v_mov_b32_e32 v2, s3
	flat_load_dwordx2 v[1:2], v[1:2]
.LBB4_2:
	v_mov_b32_e32 v4, s1
	v_mov_b32_e32 v3, s0
	s_andn2_b32 vcc_lo, exec_lo, s7
	s_cbranch_vccnz .LBB4_4
; %bb.3:
	v_mov_b32_e32 v4, s1
	v_mov_b32_e32 v3, s0
	flat_load_dwordx2 v[3:4], v[3:4]
.LBB4_4:
	s_waitcnt vmcnt(0) lgkmcnt(0)
	v_cmp_neq_f64_e32 vcc_lo, 0, v[1:2]
	v_cmp_neq_f64_e64 s0, 1.0, v[3:4]
	s_or_b32 s0, vcc_lo, s0
	s_and_saveexec_b32 s1, s0
	s_cbranch_execz .LBB4_26
; %bb.5:
	s_load_dwordx2 s[0:1], s[4:5], 0x18
	s_waitcnt lgkmcnt(0)
	s_cmp_eq_u64 s[0:1], 0
	s_cbranch_scc1 .LBB4_7
; %bb.6:
	s_ashr_i32 s7, s6, 31
	s_lshl_b64 s[2:3], s[6:7], 2
	s_add_u32 s0, s0, s2
	s_addc_u32 s1, s1, s3
	s_load_dword s0, s[0:1], 0x0
	s_waitcnt lgkmcnt(0)
	s_sub_i32 s6, s0, s16
.LBB4_7:
	s_load_dword s3, s[4:5], 0x40
	v_lshrrev_b32_e32 v5, 4, v0
	s_waitcnt lgkmcnt(0)
	v_cmp_gt_i32_e32 vcc_lo, s3, v5
	s_and_b32 exec_lo, exec_lo, vcc_lo
	s_cbranch_execz .LBB4_26
; %bb.8:
	s_load_dwordx8 s[8:15], s[4:5], 0x20
	s_ashr_i32 s7, s6, 31
	v_mbcnt_lo_u32_b32 v9, -1, 0
	s_lshl_b64 s[22:23], s[6:7], 2
	s_load_dword s27, s[4:5], 0x0
	v_cmp_eq_f64_e64 s0, 0, v[3:4]
	v_and_b32_e32 v7, 15, v0
	v_xor_b32_e32 v10, 8, v9
	v_xor_b32_e32 v11, 4, v9
	;; [unrolled: 1-line block ×4, first 2 shown]
	v_mov_b32_e32 v6, 0
	v_cmp_gt_i32_e32 vcc_lo, 32, v10
	s_mul_hi_u32 s17, s3, s3
	s_mul_i32 s20, s3, s3
	v_mul_lo_u32 v0, s3, v5
	v_mul_lo_u32 v17, s3, v7
	v_cndmask_b32_e32 v10, v9, v10, vcc_lo
	v_cmp_gt_i32_e32 vcc_lo, 32, v11
	v_cmp_gt_u32_e64 s1, s3, v7
	s_waitcnt lgkmcnt(0)
	s_add_u32 s24, s8, s22
	s_addc_u32 s25, s9, s23
	v_mov_b32_e32 v8, v6
	s_load_dword s26, s[24:25], 0x0
	s_clause 0x1
	s_load_dwordx2 s[8:9], s[4:5], 0x58
	s_load_dwordx2 s[18:19], s[4:5], 0x48
	v_cndmask_b32_e32 v11, v9, v11, vcc_lo
	v_cmp_gt_i32_e32 vcc_lo, 32, v12
	v_lshlrev_b32_e32 v18, 2, v10
	s_mov_b32 s7, 0
	s_mul_i32 s6, s6, s3
	v_lshlrev_b32_e32 v19, 2, v11
	v_cndmask_b32_e32 v12, v9, v12, vcc_lo
	v_cmp_gt_i32_e32 vcc_lo, 32, v13
	v_lshlrev_b32_e32 v20, 2, v12
	v_cndmask_b32_e32 v9, v9, v13, vcc_lo
	v_lshlrev_b32_e32 v21, 2, v9
	s_waitcnt lgkmcnt(0)
	s_sub_i32 s21, s26, s16
	s_add_u32 s2, s24, 4
	s_addc_u32 s4, s25, 0
	s_add_u32 s22, s10, s22
	s_addc_u32 s5, s11, s23
	s_cmp_eq_u64 s[10:11], 0
	s_cselect_b32 s5, s4, s5
	s_cselect_b32 s4, s2, s22
	v_cmp_eq_u32_e64 s2, 15, v7
	s_load_dword s4, s[4:5], 0x0
	s_mul_i32 s5, s21, s17
	s_waitcnt lgkmcnt(0)
	s_sub_i32 s10, s4, s16
	s_cmp_lt_i32 s26, s4
	s_mul_hi_u32 s4, s21, s20
	s_cselect_b32 s11, -1, 0
	s_cmp_lg_u32 s27, 0
	s_cselect_b32 s22, -1, 0
	s_ashr_i32 s23, s21, 31
	s_add_i32 s4, s4, s5
	s_mul_i32 s5, s23, s20
	s_mul_i32 s23, s21, s20
	s_add_i32 s24, s4, s5
	s_lshl_b32 s25, s3, 4
	s_branch .LBB4_10
.LBB4_9:                                ;   in Loop: Header=BB4_10 Depth=1
	s_or_b32 exec_lo, exec_lo, s4
	v_add_nc_u32_e32 v5, 16, v5
	v_add_nc_u32_e32 v0, s25, v0
	v_cmp_le_i32_e32 vcc_lo, s3, v5
	s_or_b32 s7, vcc_lo, s7
	s_andn2_b32 exec_lo, exec_lo, s7
	s_cbranch_execz .LBB4_26
.LBB4_10:                               ; =>This Loop Header: Depth=1
                                        ;     Child Loop BB4_14 Depth 2
                                        ;       Child Loop BB4_17 Depth 3
	v_mov_b32_e32 v9, 0
	v_mov_b32_e32 v10, 0
	s_andn2_b32 vcc_lo, exec_lo, s11
	s_cbranch_vccnz .LBB4_21
; %bb.11:                               ;   in Loop: Header=BB4_10 Depth=1
	s_waitcnt lgkmcnt(1)
	v_ashrrev_i32_e32 v11, 31, v0
	v_add_co_u32 v22, vcc_lo, s23, v0
	v_mov_b32_e32 v9, 0
	v_mov_b32_e32 v10, 0
	v_add_co_ci_u32_e64 v23, null, s24, v11, vcc_lo
	s_mov_b32 s4, s21
	s_branch .LBB4_14
.LBB4_12:                               ;   in Loop: Header=BB4_14 Depth=2
	s_inst_prefetch 0x2
	s_or_b32 exec_lo, exec_lo, s5
.LBB4_13:                               ;   in Loop: Header=BB4_14 Depth=2
	s_or_b32 exec_lo, exec_lo, s26
	v_add_co_u32 v22, vcc_lo, v22, s20
	v_add_co_ci_u32_e64 v23, null, s17, v23, vcc_lo
	s_add_i32 s4, s4, 1
	s_cmp_ge_i32 s4, s10
	s_cbranch_scc1 .LBB4_21
.LBB4_14:                               ;   Parent Loop BB4_10 Depth=1
                                        ; =>  This Loop Header: Depth=2
                                        ;       Child Loop BB4_17 Depth 3
	s_and_saveexec_b32 s26, s1
	s_cbranch_execz .LBB4_13
; %bb.15:                               ;   in Loop: Header=BB4_14 Depth=2
	s_ashr_i32 s5, s4, 31
	s_waitcnt lgkmcnt(0)
	v_mad_u64_u32 v[11:12], null, s20, s4, v[5:6]
	s_lshl_b64 s[28:29], s[4:5], 2
	s_mul_i32 s5, s20, s5
	s_add_u32 s28, s12, s28
	s_addc_u32 s29, s13, s29
	v_mov_b32_e32 v14, v8
	s_load_dword s27, s[28:29], 0x0
	s_mul_i32 s28, s17, s4
	v_mov_b32_e32 v24, v17
	v_mov_b32_e32 v13, v7
	v_add3_u32 v12, s5, s28, v12
	s_waitcnt lgkmcnt(0)
	s_sub_i32 s5, s27, s16
	s_mul_i32 s27, s5, s3
	s_mov_b32 s5, 0
	s_inst_prefetch 0x1
	s_branch .LBB4_17
	.p2align	6
.LBB4_16:                               ;   in Loop: Header=BB4_17 Depth=3
	v_add_nc_u32_e32 v25, s27, v13
	v_lshlrev_b64 v[15:16], 3, v[15:16]
	v_add_nc_u32_e32 v24, s25, v24
	v_ashrrev_i32_e32 v26, 31, v25
	v_add_co_u32 v15, vcc_lo, s14, v15
	v_add_co_ci_u32_e64 v16, null, s15, v16, vcc_lo
	v_lshlrev_b64 v[25:26], 3, v[25:26]
	v_add_co_u32 v25, vcc_lo, s18, v25
	v_add_co_ci_u32_e64 v26, null, s19, v26, vcc_lo
	v_add_co_u32 v13, vcc_lo, v13, 16
	global_load_dwordx2 v[15:16], v[15:16], off
	global_load_dwordx2 v[25:26], v[25:26], off
	v_add_co_ci_u32_e64 v14, null, 0, v14, vcc_lo
	v_cmp_le_i32_e32 vcc_lo, s3, v13
	s_or_b32 s5, vcc_lo, s5
	s_waitcnt vmcnt(0)
	v_fma_f64 v[9:10], v[15:16], v[25:26], v[9:10]
	s_andn2_b32 exec_lo, exec_lo, s5
	s_cbranch_execz .LBB4_12
.LBB4_17:                               ;   Parent Loop BB4_10 Depth=1
                                        ;     Parent Loop BB4_14 Depth=2
                                        ; =>    This Inner Loop Header: Depth=3
	s_and_b32 vcc_lo, exec_lo, s22
	s_cbranch_vccz .LBB4_19
; %bb.18:                               ;   in Loop: Header=BB4_17 Depth=3
	v_ashrrev_i32_e32 v16, 31, v24
	v_add_co_u32 v15, vcc_lo, v11, v24
	v_add_co_ci_u32_e64 v16, null, v12, v16, vcc_lo
	s_cbranch_execnz .LBB4_16
	s_branch .LBB4_20
.LBB4_19:                               ;   in Loop: Header=BB4_17 Depth=3
                                        ; implicit-def: $vgpr15_vgpr16
.LBB4_20:                               ;   in Loop: Header=BB4_17 Depth=3
	v_add_co_u32 v15, vcc_lo, v22, v13
	v_add_co_ci_u32_e64 v16, null, v23, v14, vcc_lo
	s_branch .LBB4_16
.LBB4_21:                               ;   in Loop: Header=BB4_10 Depth=1
	s_waitcnt lgkmcnt(1)
	ds_bpermute_b32 v11, v18, v9
	s_waitcnt lgkmcnt(1)
	ds_bpermute_b32 v12, v18, v10
	s_waitcnt lgkmcnt(0)
	v_add_f64 v[9:10], v[9:10], v[11:12]
	ds_bpermute_b32 v11, v19, v9
	ds_bpermute_b32 v12, v19, v10
	s_waitcnt lgkmcnt(0)
	v_add_f64 v[9:10], v[9:10], v[11:12]
	ds_bpermute_b32 v11, v20, v9
	;; [unrolled: 4-line block ×3, first 2 shown]
	ds_bpermute_b32 v12, v21, v10
	s_and_saveexec_b32 s4, s2
	s_cbranch_execz .LBB4_9
; %bb.22:                               ;   in Loop: Header=BB4_10 Depth=1
	s_waitcnt lgkmcnt(0)
	v_add_f64 v[9:10], v[9:10], v[11:12]
	v_add_nc_u32_e32 v11, s6, v5
	v_ashrrev_i32_e32 v12, 31, v11
	v_mul_f64 v[9:10], v[1:2], v[9:10]
	s_and_saveexec_b32 s5, s0
	s_xor_b32 s5, exec_lo, s5
	s_cbranch_execz .LBB4_24
; %bb.23:                               ;   in Loop: Header=BB4_10 Depth=1
	v_lshlrev_b64 v[11:12], 3, v[11:12]
	v_add_co_u32 v11, vcc_lo, s8, v11
	v_add_co_ci_u32_e64 v12, null, s9, v12, vcc_lo
	global_store_dwordx2 v[11:12], v[9:10], off
                                        ; implicit-def: $vgpr11
                                        ; implicit-def: $vgpr9_vgpr10
.LBB4_24:                               ;   in Loop: Header=BB4_10 Depth=1
	s_andn2_saveexec_b32 s5, s5
	s_cbranch_execz .LBB4_9
; %bb.25:                               ;   in Loop: Header=BB4_10 Depth=1
	v_lshlrev_b64 v[11:12], 3, v[11:12]
	v_add_co_u32 v11, vcc_lo, s8, v11
	v_add_co_ci_u32_e64 v12, null, s9, v12, vcc_lo
	global_load_dwordx2 v[13:14], v[11:12], off
	s_waitcnt vmcnt(0)
	v_fma_f64 v[9:10], v[3:4], v[13:14], v[9:10]
	global_store_dwordx2 v[11:12], v[9:10], off
	s_branch .LBB4_9
.LBB4_26:
	s_endpgm
	.section	.rodata,"a",@progbits
	.p2align	6, 0x0
	.amdhsa_kernel _ZN9rocsparseL22bsrxmvn_general_kernelILj256ELj16EdiidddEEv20rocsparse_direction_NS_24const_host_device_scalarIT1_EET3_PKS5_PKT2_SA_S7_PKT4_S5_PKT5_S4_PT6_21rocsparse_index_base_b
		.amdhsa_group_segment_fixed_size 0
		.amdhsa_private_segment_fixed_size 0
		.amdhsa_kernarg_size 104
		.amdhsa_user_sgpr_count 6
		.amdhsa_user_sgpr_private_segment_buffer 1
		.amdhsa_user_sgpr_dispatch_ptr 0
		.amdhsa_user_sgpr_queue_ptr 0
		.amdhsa_user_sgpr_kernarg_segment_ptr 1
		.amdhsa_user_sgpr_dispatch_id 0
		.amdhsa_user_sgpr_flat_scratch_init 0
		.amdhsa_user_sgpr_private_segment_size 0
		.amdhsa_wavefront_size32 1
		.amdhsa_uses_dynamic_stack 0
		.amdhsa_system_sgpr_private_segment_wavefront_offset 0
		.amdhsa_system_sgpr_workgroup_id_x 1
		.amdhsa_system_sgpr_workgroup_id_y 0
		.amdhsa_system_sgpr_workgroup_id_z 0
		.amdhsa_system_sgpr_workgroup_info 0
		.amdhsa_system_vgpr_workitem_id 0
		.amdhsa_next_free_vgpr 27
		.amdhsa_next_free_sgpr 30
		.amdhsa_reserve_vcc 1
		.amdhsa_reserve_flat_scratch 0
		.amdhsa_float_round_mode_32 0
		.amdhsa_float_round_mode_16_64 0
		.amdhsa_float_denorm_mode_32 3
		.amdhsa_float_denorm_mode_16_64 3
		.amdhsa_dx10_clamp 1
		.amdhsa_ieee_mode 1
		.amdhsa_fp16_overflow 0
		.amdhsa_workgroup_processor_mode 1
		.amdhsa_memory_ordered 1
		.amdhsa_forward_progress 1
		.amdhsa_shared_vgpr_count 0
		.amdhsa_exception_fp_ieee_invalid_op 0
		.amdhsa_exception_fp_denorm_src 0
		.amdhsa_exception_fp_ieee_div_zero 0
		.amdhsa_exception_fp_ieee_overflow 0
		.amdhsa_exception_fp_ieee_underflow 0
		.amdhsa_exception_fp_ieee_inexact 0
		.amdhsa_exception_int_div_zero 0
	.end_amdhsa_kernel
	.section	.text._ZN9rocsparseL22bsrxmvn_general_kernelILj256ELj16EdiidddEEv20rocsparse_direction_NS_24const_host_device_scalarIT1_EET3_PKS5_PKT2_SA_S7_PKT4_S5_PKT5_S4_PT6_21rocsparse_index_base_b,"axG",@progbits,_ZN9rocsparseL22bsrxmvn_general_kernelILj256ELj16EdiidddEEv20rocsparse_direction_NS_24const_host_device_scalarIT1_EET3_PKS5_PKT2_SA_S7_PKT4_S5_PKT5_S4_PT6_21rocsparse_index_base_b,comdat
.Lfunc_end4:
	.size	_ZN9rocsparseL22bsrxmvn_general_kernelILj256ELj16EdiidddEEv20rocsparse_direction_NS_24const_host_device_scalarIT1_EET3_PKS5_PKT2_SA_S7_PKT4_S5_PKT5_S4_PT6_21rocsparse_index_base_b, .Lfunc_end4-_ZN9rocsparseL22bsrxmvn_general_kernelILj256ELj16EdiidddEEv20rocsparse_direction_NS_24const_host_device_scalarIT1_EET3_PKS5_PKT2_SA_S7_PKT4_S5_PKT5_S4_PT6_21rocsparse_index_base_b
                                        ; -- End function
	.set _ZN9rocsparseL22bsrxmvn_general_kernelILj256ELj16EdiidddEEv20rocsparse_direction_NS_24const_host_device_scalarIT1_EET3_PKS5_PKT2_SA_S7_PKT4_S5_PKT5_S4_PT6_21rocsparse_index_base_b.num_vgpr, 27
	.set _ZN9rocsparseL22bsrxmvn_general_kernelILj256ELj16EdiidddEEv20rocsparse_direction_NS_24const_host_device_scalarIT1_EET3_PKS5_PKT2_SA_S7_PKT4_S5_PKT5_S4_PT6_21rocsparse_index_base_b.num_agpr, 0
	.set _ZN9rocsparseL22bsrxmvn_general_kernelILj256ELj16EdiidddEEv20rocsparse_direction_NS_24const_host_device_scalarIT1_EET3_PKS5_PKT2_SA_S7_PKT4_S5_PKT5_S4_PT6_21rocsparse_index_base_b.numbered_sgpr, 30
	.set _ZN9rocsparseL22bsrxmvn_general_kernelILj256ELj16EdiidddEEv20rocsparse_direction_NS_24const_host_device_scalarIT1_EET3_PKS5_PKT2_SA_S7_PKT4_S5_PKT5_S4_PT6_21rocsparse_index_base_b.num_named_barrier, 0
	.set _ZN9rocsparseL22bsrxmvn_general_kernelILj256ELj16EdiidddEEv20rocsparse_direction_NS_24const_host_device_scalarIT1_EET3_PKS5_PKT2_SA_S7_PKT4_S5_PKT5_S4_PT6_21rocsparse_index_base_b.private_seg_size, 0
	.set _ZN9rocsparseL22bsrxmvn_general_kernelILj256ELj16EdiidddEEv20rocsparse_direction_NS_24const_host_device_scalarIT1_EET3_PKS5_PKT2_SA_S7_PKT4_S5_PKT5_S4_PT6_21rocsparse_index_base_b.uses_vcc, 1
	.set _ZN9rocsparseL22bsrxmvn_general_kernelILj256ELj16EdiidddEEv20rocsparse_direction_NS_24const_host_device_scalarIT1_EET3_PKS5_PKT2_SA_S7_PKT4_S5_PKT5_S4_PT6_21rocsparse_index_base_b.uses_flat_scratch, 0
	.set _ZN9rocsparseL22bsrxmvn_general_kernelILj256ELj16EdiidddEEv20rocsparse_direction_NS_24const_host_device_scalarIT1_EET3_PKS5_PKT2_SA_S7_PKT4_S5_PKT5_S4_PT6_21rocsparse_index_base_b.has_dyn_sized_stack, 0
	.set _ZN9rocsparseL22bsrxmvn_general_kernelILj256ELj16EdiidddEEv20rocsparse_direction_NS_24const_host_device_scalarIT1_EET3_PKS5_PKT2_SA_S7_PKT4_S5_PKT5_S4_PT6_21rocsparse_index_base_b.has_recursion, 0
	.set _ZN9rocsparseL22bsrxmvn_general_kernelILj256ELj16EdiidddEEv20rocsparse_direction_NS_24const_host_device_scalarIT1_EET3_PKS5_PKT2_SA_S7_PKT4_S5_PKT5_S4_PT6_21rocsparse_index_base_b.has_indirect_call, 0
	.section	.AMDGPU.csdata,"",@progbits
; Kernel info:
; codeLenInByte = 1200
; TotalNumSgprs: 32
; NumVgprs: 27
; ScratchSize: 0
; MemoryBound: 0
; FloatMode: 240
; IeeeMode: 1
; LDSByteSize: 0 bytes/workgroup (compile time only)
; SGPRBlocks: 0
; VGPRBlocks: 3
; NumSGPRsForWavesPerEU: 32
; NumVGPRsForWavesPerEU: 27
; Occupancy: 16
; WaveLimiterHint : 1
; COMPUTE_PGM_RSRC2:SCRATCH_EN: 0
; COMPUTE_PGM_RSRC2:USER_SGPR: 6
; COMPUTE_PGM_RSRC2:TRAP_HANDLER: 0
; COMPUTE_PGM_RSRC2:TGID_X_EN: 1
; COMPUTE_PGM_RSRC2:TGID_Y_EN: 0
; COMPUTE_PGM_RSRC2:TGID_Z_EN: 0
; COMPUTE_PGM_RSRC2:TIDIG_COMP_CNT: 0
	.section	.text._ZN9rocsparseL22bsrxmvn_general_kernelILj1024ELj32EdiidddEEv20rocsparse_direction_NS_24const_host_device_scalarIT1_EET3_PKS5_PKT2_SA_S7_PKT4_S5_PKT5_S4_PT6_21rocsparse_index_base_b,"axG",@progbits,_ZN9rocsparseL22bsrxmvn_general_kernelILj1024ELj32EdiidddEEv20rocsparse_direction_NS_24const_host_device_scalarIT1_EET3_PKS5_PKT2_SA_S7_PKT4_S5_PKT5_S4_PT6_21rocsparse_index_base_b,comdat
	.globl	_ZN9rocsparseL22bsrxmvn_general_kernelILj1024ELj32EdiidddEEv20rocsparse_direction_NS_24const_host_device_scalarIT1_EET3_PKS5_PKT2_SA_S7_PKT4_S5_PKT5_S4_PT6_21rocsparse_index_base_b ; -- Begin function _ZN9rocsparseL22bsrxmvn_general_kernelILj1024ELj32EdiidddEEv20rocsparse_direction_NS_24const_host_device_scalarIT1_EET3_PKS5_PKT2_SA_S7_PKT4_S5_PKT5_S4_PT6_21rocsparse_index_base_b
	.p2align	8
	.type	_ZN9rocsparseL22bsrxmvn_general_kernelILj1024ELj32EdiidddEEv20rocsparse_direction_NS_24const_host_device_scalarIT1_EET3_PKS5_PKT2_SA_S7_PKT4_S5_PKT5_S4_PT6_21rocsparse_index_base_b,@function
_ZN9rocsparseL22bsrxmvn_general_kernelILj1024ELj32EdiidddEEv20rocsparse_direction_NS_24const_host_device_scalarIT1_EET3_PKS5_PKT2_SA_S7_PKT4_S5_PKT5_S4_PT6_21rocsparse_index_base_b: ; @_ZN9rocsparseL22bsrxmvn_general_kernelILj1024ELj32EdiidddEEv20rocsparse_direction_NS_24const_host_device_scalarIT1_EET3_PKS5_PKT2_SA_S7_PKT4_S5_PKT5_S4_PT6_21rocsparse_index_base_b
; %bb.0:
	s_clause 0x2
	s_load_dwordx2 s[16:17], s[4:5], 0x60
	s_load_dwordx2 s[2:3], s[4:5], 0x8
	;; [unrolled: 1-line block ×3, first 2 shown]
	s_waitcnt lgkmcnt(0)
	s_bitcmp1_b32 s17, 0
	v_mov_b32_e32 v1, s2
	v_mov_b32_e32 v2, s3
	s_cselect_b32 s7, -1, 0
	s_and_b32 vcc_lo, exec_lo, s7
	s_xor_b32 s7, s7, -1
	s_cbranch_vccnz .LBB5_2
; %bb.1:
	v_mov_b32_e32 v1, s2
	v_mov_b32_e32 v2, s3
	flat_load_dwordx2 v[1:2], v[1:2]
.LBB5_2:
	v_mov_b32_e32 v4, s1
	v_mov_b32_e32 v3, s0
	s_andn2_b32 vcc_lo, exec_lo, s7
	s_cbranch_vccnz .LBB5_4
; %bb.3:
	v_mov_b32_e32 v4, s1
	v_mov_b32_e32 v3, s0
	flat_load_dwordx2 v[3:4], v[3:4]
.LBB5_4:
	s_waitcnt vmcnt(0) lgkmcnt(0)
	v_cmp_neq_f64_e32 vcc_lo, 0, v[1:2]
	v_cmp_neq_f64_e64 s0, 1.0, v[3:4]
	s_or_b32 s0, vcc_lo, s0
	s_and_saveexec_b32 s1, s0
	s_cbranch_execz .LBB5_26
; %bb.5:
	s_load_dwordx2 s[0:1], s[4:5], 0x18
	s_waitcnt lgkmcnt(0)
	s_cmp_eq_u64 s[0:1], 0
	s_cbranch_scc1 .LBB5_7
; %bb.6:
	s_ashr_i32 s7, s6, 31
	s_lshl_b64 s[2:3], s[6:7], 2
	s_add_u32 s0, s0, s2
	s_addc_u32 s1, s1, s3
	s_load_dword s0, s[0:1], 0x0
	s_waitcnt lgkmcnt(0)
	s_sub_i32 s6, s0, s16
.LBB5_7:
	s_load_dword s3, s[4:5], 0x40
	v_lshrrev_b32_e32 v5, 5, v0
	s_waitcnt lgkmcnt(0)
	v_cmp_gt_i32_e32 vcc_lo, s3, v5
	s_and_b32 exec_lo, exec_lo, vcc_lo
	s_cbranch_execz .LBB5_26
; %bb.8:
	s_load_dwordx8 s[8:15], s[4:5], 0x20
	s_ashr_i32 s7, s6, 31
	v_mbcnt_lo_u32_b32 v9, -1, 0
	s_lshl_b64 s[22:23], s[6:7], 2
	s_load_dword s27, s[4:5], 0x0
	v_cmp_eq_f64_e64 s0, 0, v[3:4]
	v_and_b32_e32 v7, 31, v0
	v_xor_b32_e32 v10, 16, v9
	v_xor_b32_e32 v11, 8, v9
	;; [unrolled: 1-line block ×5, first 2 shown]
	v_cmp_gt_i32_e32 vcc_lo, 32, v10
	v_mov_b32_e32 v6, 0
	s_mul_hi_u32 s17, s3, s3
	s_mul_i32 s20, s3, s3
	v_mul_lo_u32 v0, s3, v5
	v_cndmask_b32_e32 v10, v9, v10, vcc_lo
	v_cmp_gt_i32_e32 vcc_lo, 32, v11
	v_mul_lo_u32 v17, s3, v7
	s_waitcnt lgkmcnt(0)
	s_add_u32 s24, s8, s22
	s_addc_u32 s25, s9, s23
	v_cmp_gt_u32_e64 s1, s3, v7
	s_load_dword s26, s[24:25], 0x0
	s_clause 0x1
	s_load_dwordx2 s[8:9], s[4:5], 0x58
	s_load_dwordx2 s[18:19], s[4:5], 0x48
	v_cndmask_b32_e32 v11, v9, v11, vcc_lo
	v_cmp_gt_i32_e32 vcc_lo, 32, v12
	v_mov_b32_e32 v8, v6
	v_lshlrev_b32_e32 v18, 2, v10
	s_mov_b32 s7, 0
	v_lshlrev_b32_e32 v19, 2, v11
	v_cndmask_b32_e32 v12, v9, v12, vcc_lo
	v_cmp_gt_i32_e32 vcc_lo, 32, v13
	s_mul_i32 s6, s6, s3
	v_lshlrev_b32_e32 v20, 2, v12
	v_cndmask_b32_e32 v13, v9, v13, vcc_lo
	v_cmp_gt_i32_e32 vcc_lo, 32, v14
	v_lshlrev_b32_e32 v21, 2, v13
	s_waitcnt lgkmcnt(0)
	s_sub_i32 s21, s26, s16
	s_add_u32 s2, s24, 4
	s_addc_u32 s4, s25, 0
	s_add_u32 s22, s10, s22
	s_addc_u32 s5, s11, s23
	s_cmp_eq_u64 s[10:11], 0
	v_cndmask_b32_e32 v9, v9, v14, vcc_lo
	s_cselect_b32 s5, s4, s5
	s_cselect_b32 s4, s2, s22
	v_cmp_eq_u32_e64 s2, 31, v7
	s_load_dword s4, s[4:5], 0x0
	s_mul_i32 s5, s21, s17
	v_lshlrev_b32_e32 v22, 2, v9
	s_waitcnt lgkmcnt(0)
	s_sub_i32 s10, s4, s16
	s_cmp_lt_i32 s26, s4
	s_mul_hi_u32 s4, s21, s20
	s_cselect_b32 s11, -1, 0
	s_cmp_lg_u32 s27, 0
	s_cselect_b32 s22, -1, 0
	s_ashr_i32 s23, s21, 31
	s_add_i32 s4, s4, s5
	s_mul_i32 s5, s23, s20
	s_mul_i32 s23, s21, s20
	s_add_i32 s24, s4, s5
	s_lshl_b32 s25, s3, 5
	s_branch .LBB5_10
.LBB5_9:                                ;   in Loop: Header=BB5_10 Depth=1
	s_or_b32 exec_lo, exec_lo, s4
	v_add_nc_u32_e32 v5, 32, v5
	v_add_nc_u32_e32 v0, s25, v0
	v_cmp_le_i32_e32 vcc_lo, s3, v5
	s_or_b32 s7, vcc_lo, s7
	s_andn2_b32 exec_lo, exec_lo, s7
	s_cbranch_execz .LBB5_26
.LBB5_10:                               ; =>This Loop Header: Depth=1
                                        ;     Child Loop BB5_14 Depth 2
                                        ;       Child Loop BB5_17 Depth 3
	v_mov_b32_e32 v9, 0
	v_mov_b32_e32 v10, 0
	s_andn2_b32 vcc_lo, exec_lo, s11
	s_cbranch_vccnz .LBB5_21
; %bb.11:                               ;   in Loop: Header=BB5_10 Depth=1
	s_waitcnt lgkmcnt(1)
	v_ashrrev_i32_e32 v11, 31, v0
	v_add_co_u32 v23, vcc_lo, s23, v0
	v_mov_b32_e32 v9, 0
	v_mov_b32_e32 v10, 0
	v_add_co_ci_u32_e64 v24, null, s24, v11, vcc_lo
	s_mov_b32 s4, s21
	s_branch .LBB5_14
.LBB5_12:                               ;   in Loop: Header=BB5_14 Depth=2
	s_inst_prefetch 0x2
	s_or_b32 exec_lo, exec_lo, s5
.LBB5_13:                               ;   in Loop: Header=BB5_14 Depth=2
	s_or_b32 exec_lo, exec_lo, s26
	v_add_co_u32 v23, vcc_lo, v23, s20
	v_add_co_ci_u32_e64 v24, null, s17, v24, vcc_lo
	s_add_i32 s4, s4, 1
	s_cmp_ge_i32 s4, s10
	s_cbranch_scc1 .LBB5_21
.LBB5_14:                               ;   Parent Loop BB5_10 Depth=1
                                        ; =>  This Loop Header: Depth=2
                                        ;       Child Loop BB5_17 Depth 3
	s_and_saveexec_b32 s26, s1
	s_cbranch_execz .LBB5_13
; %bb.15:                               ;   in Loop: Header=BB5_14 Depth=2
	s_ashr_i32 s5, s4, 31
	s_waitcnt lgkmcnt(0)
	v_mad_u64_u32 v[11:12], null, s20, s4, v[5:6]
	s_lshl_b64 s[28:29], s[4:5], 2
	s_mul_i32 s5, s20, s5
	s_add_u32 s28, s12, s28
	s_addc_u32 s29, s13, s29
	v_mov_b32_e32 v14, v8
	s_load_dword s27, s[28:29], 0x0
	s_mul_i32 s28, s17, s4
	v_mov_b32_e32 v25, v17
	v_mov_b32_e32 v13, v7
	v_add3_u32 v12, s5, s28, v12
	s_waitcnt lgkmcnt(0)
	s_sub_i32 s5, s27, s16
	s_mul_i32 s27, s5, s3
	s_mov_b32 s5, 0
	s_inst_prefetch 0x1
	s_branch .LBB5_17
	.p2align	6
.LBB5_16:                               ;   in Loop: Header=BB5_17 Depth=3
	v_add_nc_u32_e32 v26, s27, v13
	v_lshlrev_b64 v[15:16], 3, v[15:16]
	v_add_nc_u32_e32 v25, s25, v25
	v_ashrrev_i32_e32 v27, 31, v26
	v_add_co_u32 v15, vcc_lo, s14, v15
	v_add_co_ci_u32_e64 v16, null, s15, v16, vcc_lo
	v_lshlrev_b64 v[26:27], 3, v[26:27]
	v_add_co_u32 v26, vcc_lo, s18, v26
	v_add_co_ci_u32_e64 v27, null, s19, v27, vcc_lo
	v_add_co_u32 v13, vcc_lo, v13, 32
	global_load_dwordx2 v[15:16], v[15:16], off
	global_load_dwordx2 v[26:27], v[26:27], off
	v_add_co_ci_u32_e64 v14, null, 0, v14, vcc_lo
	v_cmp_le_i32_e32 vcc_lo, s3, v13
	s_or_b32 s5, vcc_lo, s5
	s_waitcnt vmcnt(0)
	v_fma_f64 v[9:10], v[15:16], v[26:27], v[9:10]
	s_andn2_b32 exec_lo, exec_lo, s5
	s_cbranch_execz .LBB5_12
.LBB5_17:                               ;   Parent Loop BB5_10 Depth=1
                                        ;     Parent Loop BB5_14 Depth=2
                                        ; =>    This Inner Loop Header: Depth=3
	s_and_b32 vcc_lo, exec_lo, s22
	s_cbranch_vccz .LBB5_19
; %bb.18:                               ;   in Loop: Header=BB5_17 Depth=3
	v_ashrrev_i32_e32 v16, 31, v25
	v_add_co_u32 v15, vcc_lo, v11, v25
	v_add_co_ci_u32_e64 v16, null, v12, v16, vcc_lo
	s_cbranch_execnz .LBB5_16
	s_branch .LBB5_20
.LBB5_19:                               ;   in Loop: Header=BB5_17 Depth=3
                                        ; implicit-def: $vgpr15_vgpr16
.LBB5_20:                               ;   in Loop: Header=BB5_17 Depth=3
	v_add_co_u32 v15, vcc_lo, v23, v13
	v_add_co_ci_u32_e64 v16, null, v24, v14, vcc_lo
	s_branch .LBB5_16
.LBB5_21:                               ;   in Loop: Header=BB5_10 Depth=1
	s_waitcnt lgkmcnt(1)
	ds_bpermute_b32 v11, v18, v9
	s_waitcnt lgkmcnt(1)
	ds_bpermute_b32 v12, v18, v10
	s_waitcnt lgkmcnt(0)
	v_add_f64 v[9:10], v[9:10], v[11:12]
	ds_bpermute_b32 v11, v19, v9
	ds_bpermute_b32 v12, v19, v10
	s_waitcnt lgkmcnt(0)
	v_add_f64 v[9:10], v[9:10], v[11:12]
	ds_bpermute_b32 v11, v20, v9
	;; [unrolled: 4-line block ×4, first 2 shown]
	ds_bpermute_b32 v12, v22, v10
	s_and_saveexec_b32 s4, s2
	s_cbranch_execz .LBB5_9
; %bb.22:                               ;   in Loop: Header=BB5_10 Depth=1
	s_waitcnt lgkmcnt(0)
	v_add_f64 v[9:10], v[9:10], v[11:12]
	v_add_nc_u32_e32 v11, s6, v5
	v_ashrrev_i32_e32 v12, 31, v11
	v_mul_f64 v[9:10], v[1:2], v[9:10]
	s_and_saveexec_b32 s5, s0
	s_xor_b32 s5, exec_lo, s5
	s_cbranch_execz .LBB5_24
; %bb.23:                               ;   in Loop: Header=BB5_10 Depth=1
	v_lshlrev_b64 v[11:12], 3, v[11:12]
	v_add_co_u32 v11, vcc_lo, s8, v11
	v_add_co_ci_u32_e64 v12, null, s9, v12, vcc_lo
	global_store_dwordx2 v[11:12], v[9:10], off
                                        ; implicit-def: $vgpr11
                                        ; implicit-def: $vgpr9_vgpr10
.LBB5_24:                               ;   in Loop: Header=BB5_10 Depth=1
	s_andn2_saveexec_b32 s5, s5
	s_cbranch_execz .LBB5_9
; %bb.25:                               ;   in Loop: Header=BB5_10 Depth=1
	v_lshlrev_b64 v[11:12], 3, v[11:12]
	v_add_co_u32 v11, vcc_lo, s8, v11
	v_add_co_ci_u32_e64 v12, null, s9, v12, vcc_lo
	global_load_dwordx2 v[13:14], v[11:12], off
	s_waitcnt vmcnt(0)
	v_fma_f64 v[9:10], v[3:4], v[13:14], v[9:10]
	global_store_dwordx2 v[11:12], v[9:10], off
	s_branch .LBB5_9
.LBB5_26:
	s_endpgm
	.section	.rodata,"a",@progbits
	.p2align	6, 0x0
	.amdhsa_kernel _ZN9rocsparseL22bsrxmvn_general_kernelILj1024ELj32EdiidddEEv20rocsparse_direction_NS_24const_host_device_scalarIT1_EET3_PKS5_PKT2_SA_S7_PKT4_S5_PKT5_S4_PT6_21rocsparse_index_base_b
		.amdhsa_group_segment_fixed_size 0
		.amdhsa_private_segment_fixed_size 0
		.amdhsa_kernarg_size 104
		.amdhsa_user_sgpr_count 6
		.amdhsa_user_sgpr_private_segment_buffer 1
		.amdhsa_user_sgpr_dispatch_ptr 0
		.amdhsa_user_sgpr_queue_ptr 0
		.amdhsa_user_sgpr_kernarg_segment_ptr 1
		.amdhsa_user_sgpr_dispatch_id 0
		.amdhsa_user_sgpr_flat_scratch_init 0
		.amdhsa_user_sgpr_private_segment_size 0
		.amdhsa_wavefront_size32 1
		.amdhsa_uses_dynamic_stack 0
		.amdhsa_system_sgpr_private_segment_wavefront_offset 0
		.amdhsa_system_sgpr_workgroup_id_x 1
		.amdhsa_system_sgpr_workgroup_id_y 0
		.amdhsa_system_sgpr_workgroup_id_z 0
		.amdhsa_system_sgpr_workgroup_info 0
		.amdhsa_system_vgpr_workitem_id 0
		.amdhsa_next_free_vgpr 28
		.amdhsa_next_free_sgpr 30
		.amdhsa_reserve_vcc 1
		.amdhsa_reserve_flat_scratch 0
		.amdhsa_float_round_mode_32 0
		.amdhsa_float_round_mode_16_64 0
		.amdhsa_float_denorm_mode_32 3
		.amdhsa_float_denorm_mode_16_64 3
		.amdhsa_dx10_clamp 1
		.amdhsa_ieee_mode 1
		.amdhsa_fp16_overflow 0
		.amdhsa_workgroup_processor_mode 1
		.amdhsa_memory_ordered 1
		.amdhsa_forward_progress 1
		.amdhsa_shared_vgpr_count 0
		.amdhsa_exception_fp_ieee_invalid_op 0
		.amdhsa_exception_fp_denorm_src 0
		.amdhsa_exception_fp_ieee_div_zero 0
		.amdhsa_exception_fp_ieee_overflow 0
		.amdhsa_exception_fp_ieee_underflow 0
		.amdhsa_exception_fp_ieee_inexact 0
		.amdhsa_exception_int_div_zero 0
	.end_amdhsa_kernel
	.section	.text._ZN9rocsparseL22bsrxmvn_general_kernelILj1024ELj32EdiidddEEv20rocsparse_direction_NS_24const_host_device_scalarIT1_EET3_PKS5_PKT2_SA_S7_PKT4_S5_PKT5_S4_PT6_21rocsparse_index_base_b,"axG",@progbits,_ZN9rocsparseL22bsrxmvn_general_kernelILj1024ELj32EdiidddEEv20rocsparse_direction_NS_24const_host_device_scalarIT1_EET3_PKS5_PKT2_SA_S7_PKT4_S5_PKT5_S4_PT6_21rocsparse_index_base_b,comdat
.Lfunc_end5:
	.size	_ZN9rocsparseL22bsrxmvn_general_kernelILj1024ELj32EdiidddEEv20rocsparse_direction_NS_24const_host_device_scalarIT1_EET3_PKS5_PKT2_SA_S7_PKT4_S5_PKT5_S4_PT6_21rocsparse_index_base_b, .Lfunc_end5-_ZN9rocsparseL22bsrxmvn_general_kernelILj1024ELj32EdiidddEEv20rocsparse_direction_NS_24const_host_device_scalarIT1_EET3_PKS5_PKT2_SA_S7_PKT4_S5_PKT5_S4_PT6_21rocsparse_index_base_b
                                        ; -- End function
	.set _ZN9rocsparseL22bsrxmvn_general_kernelILj1024ELj32EdiidddEEv20rocsparse_direction_NS_24const_host_device_scalarIT1_EET3_PKS5_PKT2_SA_S7_PKT4_S5_PKT5_S4_PT6_21rocsparse_index_base_b.num_vgpr, 28
	.set _ZN9rocsparseL22bsrxmvn_general_kernelILj1024ELj32EdiidddEEv20rocsparse_direction_NS_24const_host_device_scalarIT1_EET3_PKS5_PKT2_SA_S7_PKT4_S5_PKT5_S4_PT6_21rocsparse_index_base_b.num_agpr, 0
	.set _ZN9rocsparseL22bsrxmvn_general_kernelILj1024ELj32EdiidddEEv20rocsparse_direction_NS_24const_host_device_scalarIT1_EET3_PKS5_PKT2_SA_S7_PKT4_S5_PKT5_S4_PT6_21rocsparse_index_base_b.numbered_sgpr, 30
	.set _ZN9rocsparseL22bsrxmvn_general_kernelILj1024ELj32EdiidddEEv20rocsparse_direction_NS_24const_host_device_scalarIT1_EET3_PKS5_PKT2_SA_S7_PKT4_S5_PKT5_S4_PT6_21rocsparse_index_base_b.num_named_barrier, 0
	.set _ZN9rocsparseL22bsrxmvn_general_kernelILj1024ELj32EdiidddEEv20rocsparse_direction_NS_24const_host_device_scalarIT1_EET3_PKS5_PKT2_SA_S7_PKT4_S5_PKT5_S4_PT6_21rocsparse_index_base_b.private_seg_size, 0
	.set _ZN9rocsparseL22bsrxmvn_general_kernelILj1024ELj32EdiidddEEv20rocsparse_direction_NS_24const_host_device_scalarIT1_EET3_PKS5_PKT2_SA_S7_PKT4_S5_PKT5_S4_PT6_21rocsparse_index_base_b.uses_vcc, 1
	.set _ZN9rocsparseL22bsrxmvn_general_kernelILj1024ELj32EdiidddEEv20rocsparse_direction_NS_24const_host_device_scalarIT1_EET3_PKS5_PKT2_SA_S7_PKT4_S5_PKT5_S4_PT6_21rocsparse_index_base_b.uses_flat_scratch, 0
	.set _ZN9rocsparseL22bsrxmvn_general_kernelILj1024ELj32EdiidddEEv20rocsparse_direction_NS_24const_host_device_scalarIT1_EET3_PKS5_PKT2_SA_S7_PKT4_S5_PKT5_S4_PT6_21rocsparse_index_base_b.has_dyn_sized_stack, 0
	.set _ZN9rocsparseL22bsrxmvn_general_kernelILj1024ELj32EdiidddEEv20rocsparse_direction_NS_24const_host_device_scalarIT1_EET3_PKS5_PKT2_SA_S7_PKT4_S5_PKT5_S4_PT6_21rocsparse_index_base_b.has_recursion, 0
	.set _ZN9rocsparseL22bsrxmvn_general_kernelILj1024ELj32EdiidddEEv20rocsparse_direction_NS_24const_host_device_scalarIT1_EET3_PKS5_PKT2_SA_S7_PKT4_S5_PKT5_S4_PT6_21rocsparse_index_base_b.has_indirect_call, 0
	.section	.AMDGPU.csdata,"",@progbits
; Kernel info:
; codeLenInByte = 1228
; TotalNumSgprs: 32
; NumVgprs: 28
; ScratchSize: 0
; MemoryBound: 0
; FloatMode: 240
; IeeeMode: 1
; LDSByteSize: 0 bytes/workgroup (compile time only)
; SGPRBlocks: 0
; VGPRBlocks: 3
; NumSGPRsForWavesPerEU: 32
; NumVGPRsForWavesPerEU: 28
; Occupancy: 16
; WaveLimiterHint : 1
; COMPUTE_PGM_RSRC2:SCRATCH_EN: 0
; COMPUTE_PGM_RSRC2:USER_SGPR: 6
; COMPUTE_PGM_RSRC2:TRAP_HANDLER: 0
; COMPUTE_PGM_RSRC2:TGID_X_EN: 1
; COMPUTE_PGM_RSRC2:TGID_Y_EN: 0
; COMPUTE_PGM_RSRC2:TGID_Z_EN: 0
; COMPUTE_PGM_RSRC2:TIDIG_COMP_CNT: 0
	.section	.text._ZN9rocsparseL22bsrxmvn_general_kernelILj64ELj8E21rocsparse_complex_numIfEiiS2_S2_S2_EEv20rocsparse_direction_NS_24const_host_device_scalarIT1_EET3_PKS7_PKT2_SC_S9_PKT4_S7_PKT5_S6_PT6_21rocsparse_index_base_b,"axG",@progbits,_ZN9rocsparseL22bsrxmvn_general_kernelILj64ELj8E21rocsparse_complex_numIfEiiS2_S2_S2_EEv20rocsparse_direction_NS_24const_host_device_scalarIT1_EET3_PKS7_PKT2_SC_S9_PKT4_S7_PKT5_S6_PT6_21rocsparse_index_base_b,comdat
	.globl	_ZN9rocsparseL22bsrxmvn_general_kernelILj64ELj8E21rocsparse_complex_numIfEiiS2_S2_S2_EEv20rocsparse_direction_NS_24const_host_device_scalarIT1_EET3_PKS7_PKT2_SC_S9_PKT4_S7_PKT5_S6_PT6_21rocsparse_index_base_b ; -- Begin function _ZN9rocsparseL22bsrxmvn_general_kernelILj64ELj8E21rocsparse_complex_numIfEiiS2_S2_S2_EEv20rocsparse_direction_NS_24const_host_device_scalarIT1_EET3_PKS7_PKT2_SC_S9_PKT4_S7_PKT5_S6_PT6_21rocsparse_index_base_b
	.p2align	8
	.type	_ZN9rocsparseL22bsrxmvn_general_kernelILj64ELj8E21rocsparse_complex_numIfEiiS2_S2_S2_EEv20rocsparse_direction_NS_24const_host_device_scalarIT1_EET3_PKS7_PKT2_SC_S9_PKT4_S7_PKT5_S6_PT6_21rocsparse_index_base_b,@function
_ZN9rocsparseL22bsrxmvn_general_kernelILj64ELj8E21rocsparse_complex_numIfEiiS2_S2_S2_EEv20rocsparse_direction_NS_24const_host_device_scalarIT1_EET3_PKS7_PKT2_SC_S9_PKT4_S7_PKT5_S6_PT6_21rocsparse_index_base_b: ; @_ZN9rocsparseL22bsrxmvn_general_kernelILj64ELj8E21rocsparse_complex_numIfEiiS2_S2_S2_EEv20rocsparse_direction_NS_24const_host_device_scalarIT1_EET3_PKS7_PKT2_SC_S9_PKT4_S7_PKT5_S6_PT6_21rocsparse_index_base_b
; %bb.0:
	s_clause 0x2
	s_load_dwordx2 s[16:17], s[4:5], 0x60
	s_load_dwordx2 s[0:1], s[4:5], 0x8
	;; [unrolled: 1-line block ×3, first 2 shown]
	s_add_u32 s7, s4, 8
	s_addc_u32 s8, s5, 0
	s_add_u32 s9, s4, 0x50
	s_addc_u32 s10, s5, 0
	s_waitcnt lgkmcnt(0)
	s_bitcmp1_b32 s17, 0
	s_cselect_b32 s0, s7, s0
	s_cselect_b32 s1, s8, s1
	v_mov_b32_e32 v1, s0
	v_mov_b32_e32 v2, s1
	s_cselect_b32 s0, s9, s2
	s_cselect_b32 s1, s10, s3
	v_mov_b32_e32 v3, s0
	v_mov_b32_e32 v4, s1
	flat_load_dwordx2 v[1:2], v[1:2]
	flat_load_dwordx2 v[3:4], v[3:4]
	s_waitcnt vmcnt(1) lgkmcnt(1)
	v_cmp_eq_f32_e32 vcc_lo, 0, v1
	v_cmp_eq_f32_e64 s0, 0, v2
	s_and_b32 s2, vcc_lo, s0
	s_mov_b32 s0, -1
	s_and_saveexec_b32 s1, s2
	s_cbranch_execz .LBB6_2
; %bb.1:
	s_waitcnt vmcnt(0) lgkmcnt(0)
	v_cmp_neq_f32_e32 vcc_lo, 1.0, v3
	v_cmp_neq_f32_e64 s0, 0, v4
	s_or_b32 s0, vcc_lo, s0
	s_orn2_b32 s0, s0, exec_lo
.LBB6_2:
	s_or_b32 exec_lo, exec_lo, s1
	s_and_saveexec_b32 s1, s0
	s_cbranch_execz .LBB6_24
; %bb.3:
	s_load_dwordx2 s[0:1], s[4:5], 0x18
	s_waitcnt lgkmcnt(0)
	s_cmp_eq_u64 s[0:1], 0
	s_cbranch_scc1 .LBB6_5
; %bb.4:
	s_ashr_i32 s7, s6, 31
	s_lshl_b64 s[2:3], s[6:7], 2
	s_add_u32 s0, s0, s2
	s_addc_u32 s1, s1, s3
	s_load_dword s0, s[0:1], 0x0
	s_waitcnt lgkmcnt(0)
	s_sub_i32 s6, s0, s16
.LBB6_5:
	s_load_dword s17, s[4:5], 0x40
	v_lshrrev_b32_e32 v5, 3, v0
	s_waitcnt lgkmcnt(0)
	v_cmp_gt_i32_e32 vcc_lo, s17, v5
	s_and_b32 exec_lo, exec_lo, vcc_lo
	s_cbranch_execz .LBB6_24
; %bb.6:
	s_load_dwordx8 s[8:15], s[4:5], 0x20
	s_ashr_i32 s7, s6, 31
	v_mbcnt_lo_u32_b32 v8, -1, 0
	s_lshl_b64 s[0:1], s[6:7], 2
	s_load_dword s24, s[4:5], 0x0
	v_and_b32_e32 v7, 7, v0
	v_mov_b32_e32 v6, 0
	v_xor_b32_e32 v9, 4, v8
	v_xor_b32_e32 v10, 2, v8
	;; [unrolled: 1-line block ×3, first 2 shown]
	s_mul_i32 s7, s17, s17
	v_mul_lo_u32 v0, s17, v5
	v_mul_lo_u32 v15, s17, v7
	s_waitcnt vmcnt(0)
	v_cmp_eq_f32_e32 vcc_lo, 0, v3
	v_cmp_eq_f32_e64 s2, 0, v4
	s_mul_i32 s6, s6, s17
	s_waitcnt lgkmcnt(0)
	s_add_u32 s22, s8, s0
	s_addc_u32 s23, s9, s1
	s_load_dword s21, s[22:23], 0x0
	s_clause 0x1
	s_load_dwordx2 s[8:9], s[4:5], 0x58
	s_load_dwordx2 s[18:19], s[4:5], 0x48
	s_mul_hi_u32 s5, s17, s17
	s_mov_b32 s4, 0
	s_waitcnt lgkmcnt(0)
	s_sub_i32 s20, s21, s16
	s_add_u32 s3, s22, 4
	s_addc_u32 s22, s23, 0
	s_add_u32 s0, s10, s0
	s_addc_u32 s1, s11, s1
	s_cmp_eq_u64 s[10:11], 0
	s_mul_hi_u32 s23, s20, s7
	s_cselect_b32 s1, s22, s1
	s_cselect_b32 s0, s3, s0
	v_cmp_gt_i32_e64 s3, 32, v9
	s_load_dword s11, s[0:1], 0x0
	v_cmp_gt_u32_e64 s0, s17, v7
	v_cmp_eq_u32_e64 s1, 7, v7
	v_cndmask_b32_e64 v9, v8, v9, s3
	v_cmp_gt_i32_e64 s3, 32, v10
	v_lshlrev_b32_e32 v16, 2, v9
	v_cndmask_b32_e64 v10, v8, v10, s3
	v_cmp_gt_i32_e64 s3, 32, v11
	v_lshlrev_b32_e32 v17, 2, v10
	v_cndmask_b32_e64 v11, v8, v11, s3
	s_mul_i32 s3, s20, s5
	v_mov_b32_e32 v8, v6
	s_waitcnt lgkmcnt(0)
	s_sub_i32 s10, s11, s16
	s_cmp_lt_i32 s21, s11
	v_lshlrev_b32_e32 v18, 2, v11
	s_cselect_b32 s21, -1, 0
	s_cmp_lg_u32 s24, 0
	s_mul_i32 s11, s20, s7
	s_cselect_b32 s22, -1, 0
	s_ashr_i32 s24, s20, 31
	s_add_i32 s3, s23, s3
	s_mul_i32 s24, s24, s7
	s_and_b32 s23, vcc_lo, s2
	s_add_i32 s24, s3, s24
	s_lshl_b32 s25, s17, 3
	s_branch .LBB6_8
.LBB6_7:                                ;   in Loop: Header=BB6_8 Depth=1
	s_or_b32 exec_lo, exec_lo, s2
	v_add_nc_u32_e32 v5, 8, v5
	v_add_nc_u32_e32 v0, s25, v0
	v_cmp_le_i32_e32 vcc_lo, s17, v5
	s_or_b32 s4, vcc_lo, s4
	s_andn2_b32 exec_lo, exec_lo, s4
	s_cbranch_execz .LBB6_24
.LBB6_8:                                ; =>This Loop Header: Depth=1
                                        ;     Child Loop BB6_12 Depth 2
                                        ;       Child Loop BB6_15 Depth 3
	v_mov_b32_e32 v19, 0
	v_mov_b32_e32 v20, 0
	s_andn2_b32 vcc_lo, exec_lo, s21
	s_cbranch_vccnz .LBB6_19
; %bb.9:                                ;   in Loop: Header=BB6_8 Depth=1
	v_ashrrev_i32_e32 v9, 31, v0
	v_add_co_u32 v21, vcc_lo, s11, v0
	v_mov_b32_e32 v19, 0
	v_mov_b32_e32 v20, 0
	v_add_co_ci_u32_e64 v22, null, s24, v9, vcc_lo
	s_mov_b32 s2, s20
	s_branch .LBB6_12
.LBB6_10:                               ;   in Loop: Header=BB6_12 Depth=2
	s_or_b32 exec_lo, exec_lo, s3
.LBB6_11:                               ;   in Loop: Header=BB6_12 Depth=2
	s_or_b32 exec_lo, exec_lo, s26
	v_add_co_u32 v21, vcc_lo, v21, s7
	v_add_co_ci_u32_e64 v22, null, s5, v22, vcc_lo
	s_add_i32 s2, s2, 1
	s_cmp_ge_i32 s2, s10
	s_cbranch_scc1 .LBB6_19
.LBB6_12:                               ;   Parent Loop BB6_8 Depth=1
                                        ; =>  This Loop Header: Depth=2
                                        ;       Child Loop BB6_15 Depth 3
	s_and_saveexec_b32 s26, s0
	s_cbranch_execz .LBB6_11
; %bb.13:                               ;   in Loop: Header=BB6_12 Depth=2
	s_ashr_i32 s3, s2, 31
	s_waitcnt lgkmcnt(1)
	v_mad_u64_u32 v[9:10], null, s7, s2, v[5:6]
	s_lshl_b64 s[28:29], s[2:3], 2
	s_mul_i32 s3, s7, s3
	s_add_u32 s28, s12, s28
	s_addc_u32 s29, s13, s29
	s_waitcnt lgkmcnt(0)
	v_mov_b32_e32 v12, v8
	s_load_dword s27, s[28:29], 0x0
	s_mul_i32 s28, s5, s2
	v_mov_b32_e32 v23, v15
	v_mov_b32_e32 v11, v7
	v_add3_u32 v10, s3, s28, v10
	s_waitcnt lgkmcnt(0)
	s_sub_i32 s3, s27, s16
	s_mul_i32 s27, s3, s17
	s_mov_b32 s3, 0
	s_branch .LBB6_15
.LBB6_14:                               ;   in Loop: Header=BB6_15 Depth=3
	v_add_nc_u32_e32 v24, s27, v11
	v_lshlrev_b64 v[13:14], 3, v[13:14]
	v_add_nc_u32_e32 v23, s25, v23
	v_ashrrev_i32_e32 v25, 31, v24
	v_add_co_u32 v13, vcc_lo, s14, v13
	v_add_co_ci_u32_e64 v14, null, s15, v14, vcc_lo
	v_lshlrev_b64 v[24:25], 3, v[24:25]
	v_add_co_u32 v24, vcc_lo, s18, v24
	v_add_co_ci_u32_e64 v25, null, s19, v25, vcc_lo
	v_add_co_u32 v11, vcc_lo, v11, 8
	global_load_dwordx2 v[13:14], v[13:14], off
	global_load_dwordx2 v[24:25], v[24:25], off
	v_add_co_ci_u32_e64 v12, null, 0, v12, vcc_lo
	v_cmp_le_i32_e32 vcc_lo, s17, v11
	s_or_b32 s3, vcc_lo, s3
	s_waitcnt vmcnt(0)
	v_fmac_f32_e32 v20, v13, v24
	v_fmac_f32_e32 v19, v14, v24
	v_fma_f32 v20, -v14, v25, v20
	v_fmac_f32_e32 v19, v13, v25
	s_andn2_b32 exec_lo, exec_lo, s3
	s_cbranch_execz .LBB6_10
.LBB6_15:                               ;   Parent Loop BB6_8 Depth=1
                                        ;     Parent Loop BB6_12 Depth=2
                                        ; =>    This Inner Loop Header: Depth=3
	s_and_b32 vcc_lo, exec_lo, s22
	s_cbranch_vccz .LBB6_17
; %bb.16:                               ;   in Loop: Header=BB6_15 Depth=3
	v_ashrrev_i32_e32 v14, 31, v23
	v_add_co_u32 v13, vcc_lo, v9, v23
	v_add_co_ci_u32_e64 v14, null, v10, v14, vcc_lo
	s_cbranch_execnz .LBB6_14
	s_branch .LBB6_18
.LBB6_17:                               ;   in Loop: Header=BB6_15 Depth=3
                                        ; implicit-def: $vgpr13_vgpr14
.LBB6_18:                               ;   in Loop: Header=BB6_15 Depth=3
	v_add_co_u32 v13, vcc_lo, v21, v11
	v_add_co_ci_u32_e64 v14, null, v22, v12, vcc_lo
	s_branch .LBB6_14
.LBB6_19:                               ;   in Loop: Header=BB6_8 Depth=1
	ds_bpermute_b32 v9, v16, v20
	s_waitcnt lgkmcnt(2)
	ds_bpermute_b32 v10, v16, v19
	s_waitcnt lgkmcnt(1)
	v_add_f32_e32 v9, v20, v9
	s_waitcnt lgkmcnt(0)
	v_add_f32_e32 v10, v19, v10
	ds_bpermute_b32 v11, v17, v9
	ds_bpermute_b32 v12, v17, v10
	s_waitcnt lgkmcnt(1)
	v_add_f32_e32 v9, v9, v11
	s_waitcnt lgkmcnt(0)
	v_add_f32_e32 v11, v10, v12
	ds_bpermute_b32 v10, v18, v9
	ds_bpermute_b32 v12, v18, v11
	s_and_saveexec_b32 s2, s1
	s_cbranch_execz .LBB6_7
; %bb.20:                               ;   in Loop: Header=BB6_8 Depth=1
	s_waitcnt lgkmcnt(0)
	v_add_f32_e32 v11, v11, v12
	v_add_f32_e32 v12, v9, v10
	v_mul_f32_e64 v9, v11, -v2
	v_mul_f32_e32 v10, v1, v11
	v_add_nc_u32_e32 v11, s6, v5
	v_fmac_f32_e32 v9, v1, v12
	v_fmac_f32_e32 v10, v2, v12
	v_ashrrev_i32_e32 v12, 31, v11
	s_and_saveexec_b32 s3, s23
	s_xor_b32 s3, exec_lo, s3
	s_cbranch_execz .LBB6_22
; %bb.21:                               ;   in Loop: Header=BB6_8 Depth=1
	v_lshlrev_b64 v[11:12], 3, v[11:12]
	v_add_co_u32 v11, vcc_lo, s8, v11
	v_add_co_ci_u32_e64 v12, null, s9, v12, vcc_lo
	global_store_dwordx2 v[11:12], v[9:10], off
                                        ; implicit-def: $vgpr11
                                        ; implicit-def: $vgpr9
.LBB6_22:                               ;   in Loop: Header=BB6_8 Depth=1
	s_andn2_saveexec_b32 s3, s3
	s_cbranch_execz .LBB6_7
; %bb.23:                               ;   in Loop: Header=BB6_8 Depth=1
	v_lshlrev_b64 v[11:12], 3, v[11:12]
	v_add_co_u32 v11, vcc_lo, s8, v11
	v_add_co_ci_u32_e64 v12, null, s9, v12, vcc_lo
	global_load_dwordx2 v[13:14], v[11:12], off
	s_waitcnt vmcnt(0)
	v_fmac_f32_e32 v9, v3, v13
	v_fmac_f32_e32 v10, v4, v13
	v_fma_f32 v9, -v4, v14, v9
	v_fmac_f32_e32 v10, v3, v14
	global_store_dwordx2 v[11:12], v[9:10], off
	s_branch .LBB6_7
.LBB6_24:
	s_endpgm
	.section	.rodata,"a",@progbits
	.p2align	6, 0x0
	.amdhsa_kernel _ZN9rocsparseL22bsrxmvn_general_kernelILj64ELj8E21rocsparse_complex_numIfEiiS2_S2_S2_EEv20rocsparse_direction_NS_24const_host_device_scalarIT1_EET3_PKS7_PKT2_SC_S9_PKT4_S7_PKT5_S6_PT6_21rocsparse_index_base_b
		.amdhsa_group_segment_fixed_size 0
		.amdhsa_private_segment_fixed_size 0
		.amdhsa_kernarg_size 104
		.amdhsa_user_sgpr_count 6
		.amdhsa_user_sgpr_private_segment_buffer 1
		.amdhsa_user_sgpr_dispatch_ptr 0
		.amdhsa_user_sgpr_queue_ptr 0
		.amdhsa_user_sgpr_kernarg_segment_ptr 1
		.amdhsa_user_sgpr_dispatch_id 0
		.amdhsa_user_sgpr_flat_scratch_init 0
		.amdhsa_user_sgpr_private_segment_size 0
		.amdhsa_wavefront_size32 1
		.amdhsa_uses_dynamic_stack 0
		.amdhsa_system_sgpr_private_segment_wavefront_offset 0
		.amdhsa_system_sgpr_workgroup_id_x 1
		.amdhsa_system_sgpr_workgroup_id_y 0
		.amdhsa_system_sgpr_workgroup_id_z 0
		.amdhsa_system_sgpr_workgroup_info 0
		.amdhsa_system_vgpr_workitem_id 0
		.amdhsa_next_free_vgpr 26
		.amdhsa_next_free_sgpr 30
		.amdhsa_reserve_vcc 1
		.amdhsa_reserve_flat_scratch 0
		.amdhsa_float_round_mode_32 0
		.amdhsa_float_round_mode_16_64 0
		.amdhsa_float_denorm_mode_32 3
		.amdhsa_float_denorm_mode_16_64 3
		.amdhsa_dx10_clamp 1
		.amdhsa_ieee_mode 1
		.amdhsa_fp16_overflow 0
		.amdhsa_workgroup_processor_mode 1
		.amdhsa_memory_ordered 1
		.amdhsa_forward_progress 1
		.amdhsa_shared_vgpr_count 0
		.amdhsa_exception_fp_ieee_invalid_op 0
		.amdhsa_exception_fp_denorm_src 0
		.amdhsa_exception_fp_ieee_div_zero 0
		.amdhsa_exception_fp_ieee_overflow 0
		.amdhsa_exception_fp_ieee_underflow 0
		.amdhsa_exception_fp_ieee_inexact 0
		.amdhsa_exception_int_div_zero 0
	.end_amdhsa_kernel
	.section	.text._ZN9rocsparseL22bsrxmvn_general_kernelILj64ELj8E21rocsparse_complex_numIfEiiS2_S2_S2_EEv20rocsparse_direction_NS_24const_host_device_scalarIT1_EET3_PKS7_PKT2_SC_S9_PKT4_S7_PKT5_S6_PT6_21rocsparse_index_base_b,"axG",@progbits,_ZN9rocsparseL22bsrxmvn_general_kernelILj64ELj8E21rocsparse_complex_numIfEiiS2_S2_S2_EEv20rocsparse_direction_NS_24const_host_device_scalarIT1_EET3_PKS7_PKT2_SC_S9_PKT4_S7_PKT5_S6_PT6_21rocsparse_index_base_b,comdat
.Lfunc_end6:
	.size	_ZN9rocsparseL22bsrxmvn_general_kernelILj64ELj8E21rocsparse_complex_numIfEiiS2_S2_S2_EEv20rocsparse_direction_NS_24const_host_device_scalarIT1_EET3_PKS7_PKT2_SC_S9_PKT4_S7_PKT5_S6_PT6_21rocsparse_index_base_b, .Lfunc_end6-_ZN9rocsparseL22bsrxmvn_general_kernelILj64ELj8E21rocsparse_complex_numIfEiiS2_S2_S2_EEv20rocsparse_direction_NS_24const_host_device_scalarIT1_EET3_PKS7_PKT2_SC_S9_PKT4_S7_PKT5_S6_PT6_21rocsparse_index_base_b
                                        ; -- End function
	.set _ZN9rocsparseL22bsrxmvn_general_kernelILj64ELj8E21rocsparse_complex_numIfEiiS2_S2_S2_EEv20rocsparse_direction_NS_24const_host_device_scalarIT1_EET3_PKS7_PKT2_SC_S9_PKT4_S7_PKT5_S6_PT6_21rocsparse_index_base_b.num_vgpr, 26
	.set _ZN9rocsparseL22bsrxmvn_general_kernelILj64ELj8E21rocsparse_complex_numIfEiiS2_S2_S2_EEv20rocsparse_direction_NS_24const_host_device_scalarIT1_EET3_PKS7_PKT2_SC_S9_PKT4_S7_PKT5_S6_PT6_21rocsparse_index_base_b.num_agpr, 0
	.set _ZN9rocsparseL22bsrxmvn_general_kernelILj64ELj8E21rocsparse_complex_numIfEiiS2_S2_S2_EEv20rocsparse_direction_NS_24const_host_device_scalarIT1_EET3_PKS7_PKT2_SC_S9_PKT4_S7_PKT5_S6_PT6_21rocsparse_index_base_b.numbered_sgpr, 30
	.set _ZN9rocsparseL22bsrxmvn_general_kernelILj64ELj8E21rocsparse_complex_numIfEiiS2_S2_S2_EEv20rocsparse_direction_NS_24const_host_device_scalarIT1_EET3_PKS7_PKT2_SC_S9_PKT4_S7_PKT5_S6_PT6_21rocsparse_index_base_b.num_named_barrier, 0
	.set _ZN9rocsparseL22bsrxmvn_general_kernelILj64ELj8E21rocsparse_complex_numIfEiiS2_S2_S2_EEv20rocsparse_direction_NS_24const_host_device_scalarIT1_EET3_PKS7_PKT2_SC_S9_PKT4_S7_PKT5_S6_PT6_21rocsparse_index_base_b.private_seg_size, 0
	.set _ZN9rocsparseL22bsrxmvn_general_kernelILj64ELj8E21rocsparse_complex_numIfEiiS2_S2_S2_EEv20rocsparse_direction_NS_24const_host_device_scalarIT1_EET3_PKS7_PKT2_SC_S9_PKT4_S7_PKT5_S6_PT6_21rocsparse_index_base_b.uses_vcc, 1
	.set _ZN9rocsparseL22bsrxmvn_general_kernelILj64ELj8E21rocsparse_complex_numIfEiiS2_S2_S2_EEv20rocsparse_direction_NS_24const_host_device_scalarIT1_EET3_PKS7_PKT2_SC_S9_PKT4_S7_PKT5_S6_PT6_21rocsparse_index_base_b.uses_flat_scratch, 0
	.set _ZN9rocsparseL22bsrxmvn_general_kernelILj64ELj8E21rocsparse_complex_numIfEiiS2_S2_S2_EEv20rocsparse_direction_NS_24const_host_device_scalarIT1_EET3_PKS7_PKT2_SC_S9_PKT4_S7_PKT5_S6_PT6_21rocsparse_index_base_b.has_dyn_sized_stack, 0
	.set _ZN9rocsparseL22bsrxmvn_general_kernelILj64ELj8E21rocsparse_complex_numIfEiiS2_S2_S2_EEv20rocsparse_direction_NS_24const_host_device_scalarIT1_EET3_PKS7_PKT2_SC_S9_PKT4_S7_PKT5_S6_PT6_21rocsparse_index_base_b.has_recursion, 0
	.set _ZN9rocsparseL22bsrxmvn_general_kernelILj64ELj8E21rocsparse_complex_numIfEiiS2_S2_S2_EEv20rocsparse_direction_NS_24const_host_device_scalarIT1_EET3_PKS7_PKT2_SC_S9_PKT4_S7_PKT5_S6_PT6_21rocsparse_index_base_b.has_indirect_call, 0
	.section	.AMDGPU.csdata,"",@progbits
; Kernel info:
; codeLenInByte = 1236
; TotalNumSgprs: 32
; NumVgprs: 26
; ScratchSize: 0
; MemoryBound: 0
; FloatMode: 240
; IeeeMode: 1
; LDSByteSize: 0 bytes/workgroup (compile time only)
; SGPRBlocks: 0
; VGPRBlocks: 3
; NumSGPRsForWavesPerEU: 32
; NumVGPRsForWavesPerEU: 26
; Occupancy: 16
; WaveLimiterHint : 1
; COMPUTE_PGM_RSRC2:SCRATCH_EN: 0
; COMPUTE_PGM_RSRC2:USER_SGPR: 6
; COMPUTE_PGM_RSRC2:TRAP_HANDLER: 0
; COMPUTE_PGM_RSRC2:TGID_X_EN: 1
; COMPUTE_PGM_RSRC2:TGID_Y_EN: 0
; COMPUTE_PGM_RSRC2:TGID_Z_EN: 0
; COMPUTE_PGM_RSRC2:TIDIG_COMP_CNT: 0
	.section	.text._ZN9rocsparseL22bsrxmvn_general_kernelILj256ELj16E21rocsparse_complex_numIfEiiS2_S2_S2_EEv20rocsparse_direction_NS_24const_host_device_scalarIT1_EET3_PKS7_PKT2_SC_S9_PKT4_S7_PKT5_S6_PT6_21rocsparse_index_base_b,"axG",@progbits,_ZN9rocsparseL22bsrxmvn_general_kernelILj256ELj16E21rocsparse_complex_numIfEiiS2_S2_S2_EEv20rocsparse_direction_NS_24const_host_device_scalarIT1_EET3_PKS7_PKT2_SC_S9_PKT4_S7_PKT5_S6_PT6_21rocsparse_index_base_b,comdat
	.globl	_ZN9rocsparseL22bsrxmvn_general_kernelILj256ELj16E21rocsparse_complex_numIfEiiS2_S2_S2_EEv20rocsparse_direction_NS_24const_host_device_scalarIT1_EET3_PKS7_PKT2_SC_S9_PKT4_S7_PKT5_S6_PT6_21rocsparse_index_base_b ; -- Begin function _ZN9rocsparseL22bsrxmvn_general_kernelILj256ELj16E21rocsparse_complex_numIfEiiS2_S2_S2_EEv20rocsparse_direction_NS_24const_host_device_scalarIT1_EET3_PKS7_PKT2_SC_S9_PKT4_S7_PKT5_S6_PT6_21rocsparse_index_base_b
	.p2align	8
	.type	_ZN9rocsparseL22bsrxmvn_general_kernelILj256ELj16E21rocsparse_complex_numIfEiiS2_S2_S2_EEv20rocsparse_direction_NS_24const_host_device_scalarIT1_EET3_PKS7_PKT2_SC_S9_PKT4_S7_PKT5_S6_PT6_21rocsparse_index_base_b,@function
_ZN9rocsparseL22bsrxmvn_general_kernelILj256ELj16E21rocsparse_complex_numIfEiiS2_S2_S2_EEv20rocsparse_direction_NS_24const_host_device_scalarIT1_EET3_PKS7_PKT2_SC_S9_PKT4_S7_PKT5_S6_PT6_21rocsparse_index_base_b: ; @_ZN9rocsparseL22bsrxmvn_general_kernelILj256ELj16E21rocsparse_complex_numIfEiiS2_S2_S2_EEv20rocsparse_direction_NS_24const_host_device_scalarIT1_EET3_PKS7_PKT2_SC_S9_PKT4_S7_PKT5_S6_PT6_21rocsparse_index_base_b
; %bb.0:
	s_clause 0x2
	s_load_dwordx2 s[16:17], s[4:5], 0x60
	s_load_dwordx2 s[0:1], s[4:5], 0x8
	;; [unrolled: 1-line block ×3, first 2 shown]
	s_add_u32 s7, s4, 8
	s_addc_u32 s8, s5, 0
	s_add_u32 s9, s4, 0x50
	s_addc_u32 s10, s5, 0
	s_waitcnt lgkmcnt(0)
	s_bitcmp1_b32 s17, 0
	s_cselect_b32 s0, s7, s0
	s_cselect_b32 s1, s8, s1
	v_mov_b32_e32 v1, s0
	v_mov_b32_e32 v2, s1
	s_cselect_b32 s0, s9, s2
	s_cselect_b32 s1, s10, s3
	v_mov_b32_e32 v3, s0
	v_mov_b32_e32 v4, s1
	flat_load_dwordx2 v[1:2], v[1:2]
	flat_load_dwordx2 v[3:4], v[3:4]
	s_waitcnt vmcnt(1) lgkmcnt(1)
	v_cmp_eq_f32_e32 vcc_lo, 0, v1
	v_cmp_eq_f32_e64 s0, 0, v2
	s_and_b32 s2, vcc_lo, s0
	s_mov_b32 s0, -1
	s_and_saveexec_b32 s1, s2
	s_cbranch_execz .LBB7_2
; %bb.1:
	s_waitcnt vmcnt(0) lgkmcnt(0)
	v_cmp_neq_f32_e32 vcc_lo, 1.0, v3
	v_cmp_neq_f32_e64 s0, 0, v4
	s_or_b32 s0, vcc_lo, s0
	s_orn2_b32 s0, s0, exec_lo
.LBB7_2:
	s_or_b32 exec_lo, exec_lo, s1
	s_and_saveexec_b32 s1, s0
	s_cbranch_execz .LBB7_24
; %bb.3:
	s_load_dwordx2 s[0:1], s[4:5], 0x18
	s_waitcnt lgkmcnt(0)
	s_cmp_eq_u64 s[0:1], 0
	s_cbranch_scc1 .LBB7_5
; %bb.4:
	s_ashr_i32 s7, s6, 31
	s_lshl_b64 s[2:3], s[6:7], 2
	s_add_u32 s0, s0, s2
	s_addc_u32 s1, s1, s3
	s_load_dword s0, s[0:1], 0x0
	s_waitcnt lgkmcnt(0)
	s_sub_i32 s6, s0, s16
.LBB7_5:
	s_load_dword s17, s[4:5], 0x40
	v_lshrrev_b32_e32 v5, 4, v0
	s_waitcnt lgkmcnt(0)
	v_cmp_gt_i32_e32 vcc_lo, s17, v5
	s_and_b32 exec_lo, exec_lo, vcc_lo
	s_cbranch_execz .LBB7_24
; %bb.6:
	s_load_dwordx8 s[8:15], s[4:5], 0x20
	s_ashr_i32 s7, s6, 31
	v_mbcnt_lo_u32_b32 v9, -1, 0
	s_lshl_b64 s[22:23], s[6:7], 2
	s_load_dword s26, s[4:5], 0x0
	v_and_b32_e32 v7, 15, v0
	v_mov_b32_e32 v6, 0
	v_xor_b32_e32 v10, 8, v9
	v_xor_b32_e32 v11, 4, v9
	;; [unrolled: 1-line block ×4, first 2 shown]
	s_mul_i32 s7, s17, s17
	v_mul_lo_u32 v0, s17, v5
	v_mul_lo_u32 v15, s17, v7
	s_waitcnt vmcnt(0)
	v_cmp_eq_f32_e32 vcc_lo, 0, v3
	v_cmp_eq_f32_e64 s2, 0, v4
	v_cmp_gt_u32_e64 s0, s17, v7
	v_mov_b32_e32 v8, v6
	s_mul_i32 s6, s6, s17
	s_waitcnt lgkmcnt(0)
	s_add_u32 s24, s8, s22
	s_addc_u32 s25, s9, s23
	s_load_dword s21, s[24:25], 0x0
	s_clause 0x1
	s_load_dwordx2 s[8:9], s[4:5], 0x58
	s_load_dwordx2 s[18:19], s[4:5], 0x48
	s_mul_hi_u32 s5, s17, s17
	s_mov_b32 s4, 0
	s_waitcnt lgkmcnt(0)
	s_sub_i32 s20, s21, s16
	s_add_u32 s1, s24, 4
	s_addc_u32 s3, s25, 0
	s_add_u32 s22, s10, s22
	s_addc_u32 s23, s11, s23
	s_cmp_eq_u64 s[10:11], 0
	s_cselect_b32 s11, s3, s23
	s_cselect_b32 s10, s1, s22
	v_cmp_gt_i32_e64 s3, 32, v10
	s_load_dword s11, s[10:11], 0x0
	s_mul_hi_u32 s23, s20, s7
	v_cmp_eq_u32_e64 s1, 15, v7
	v_cndmask_b32_e64 v10, v9, v10, s3
	v_cmp_gt_i32_e64 s3, 32, v11
	v_lshlrev_b32_e32 v16, 2, v10
	v_cndmask_b32_e64 v11, v9, v11, s3
	v_cmp_gt_i32_e64 s3, 32, v12
	v_lshlrev_b32_e32 v17, 2, v11
	v_cndmask_b32_e64 v12, v9, v12, s3
	v_cmp_gt_i32_e64 s3, 32, v13
	s_waitcnt lgkmcnt(0)
	s_sub_i32 s10, s11, s16
	s_cmp_lt_i32 s21, s11
	v_cndmask_b32_e64 v9, v9, v13, s3
	s_cselect_b32 s21, -1, 0
	s_cmp_lg_u32 s26, 0
	s_mul_i32 s3, s20, s5
	s_cselect_b32 s22, -1, 0
	s_ashr_i32 s24, s20, 31
	v_lshlrev_b32_e32 v18, 2, v12
	v_lshlrev_b32_e32 v19, 2, v9
	s_add_i32 s3, s23, s3
	s_mul_i32 s24, s24, s7
	s_mul_i32 s11, s20, s7
	s_and_b32 s23, vcc_lo, s2
	s_add_i32 s24, s3, s24
	s_lshl_b32 s25, s17, 4
	s_branch .LBB7_8
.LBB7_7:                                ;   in Loop: Header=BB7_8 Depth=1
	s_or_b32 exec_lo, exec_lo, s2
	v_add_nc_u32_e32 v5, 16, v5
	v_add_nc_u32_e32 v0, s25, v0
	v_cmp_le_i32_e32 vcc_lo, s17, v5
	s_or_b32 s4, vcc_lo, s4
	s_andn2_b32 exec_lo, exec_lo, s4
	s_cbranch_execz .LBB7_24
.LBB7_8:                                ; =>This Loop Header: Depth=1
                                        ;     Child Loop BB7_12 Depth 2
                                        ;       Child Loop BB7_15 Depth 3
	v_mov_b32_e32 v20, 0
	v_mov_b32_e32 v21, 0
	s_andn2_b32 vcc_lo, exec_lo, s21
	s_cbranch_vccnz .LBB7_19
; %bb.9:                                ;   in Loop: Header=BB7_8 Depth=1
	v_ashrrev_i32_e32 v9, 31, v0
	v_add_co_u32 v22, vcc_lo, s11, v0
	v_mov_b32_e32 v20, 0
	v_mov_b32_e32 v21, 0
	v_add_co_ci_u32_e64 v23, null, s24, v9, vcc_lo
	s_mov_b32 s2, s20
	s_branch .LBB7_12
.LBB7_10:                               ;   in Loop: Header=BB7_12 Depth=2
	s_or_b32 exec_lo, exec_lo, s3
.LBB7_11:                               ;   in Loop: Header=BB7_12 Depth=2
	s_or_b32 exec_lo, exec_lo, s26
	v_add_co_u32 v22, vcc_lo, v22, s7
	v_add_co_ci_u32_e64 v23, null, s5, v23, vcc_lo
	s_add_i32 s2, s2, 1
	s_cmp_ge_i32 s2, s10
	s_cbranch_scc1 .LBB7_19
.LBB7_12:                               ;   Parent Loop BB7_8 Depth=1
                                        ; =>  This Loop Header: Depth=2
                                        ;       Child Loop BB7_15 Depth 3
	s_and_saveexec_b32 s26, s0
	s_cbranch_execz .LBB7_11
; %bb.13:                               ;   in Loop: Header=BB7_12 Depth=2
	s_ashr_i32 s3, s2, 31
	s_waitcnt lgkmcnt(1)
	v_mad_u64_u32 v[9:10], null, s7, s2, v[5:6]
	s_lshl_b64 s[28:29], s[2:3], 2
	s_mul_i32 s3, s7, s3
	s_add_u32 s28, s12, s28
	s_addc_u32 s29, s13, s29
	s_waitcnt lgkmcnt(0)
	v_mov_b32_e32 v12, v8
	s_load_dword s27, s[28:29], 0x0
	s_mul_i32 s28, s5, s2
	v_mov_b32_e32 v24, v15
	v_mov_b32_e32 v11, v7
	v_add3_u32 v10, s3, s28, v10
	s_waitcnt lgkmcnt(0)
	s_sub_i32 s3, s27, s16
	s_mul_i32 s27, s3, s17
	s_mov_b32 s3, 0
	s_branch .LBB7_15
.LBB7_14:                               ;   in Loop: Header=BB7_15 Depth=3
	v_add_nc_u32_e32 v25, s27, v11
	v_lshlrev_b64 v[13:14], 3, v[13:14]
	v_add_nc_u32_e32 v24, s25, v24
	v_ashrrev_i32_e32 v26, 31, v25
	v_add_co_u32 v13, vcc_lo, s14, v13
	v_add_co_ci_u32_e64 v14, null, s15, v14, vcc_lo
	v_lshlrev_b64 v[25:26], 3, v[25:26]
	v_add_co_u32 v25, vcc_lo, s18, v25
	v_add_co_ci_u32_e64 v26, null, s19, v26, vcc_lo
	v_add_co_u32 v11, vcc_lo, v11, 16
	global_load_dwordx2 v[13:14], v[13:14], off
	global_load_dwordx2 v[25:26], v[25:26], off
	v_add_co_ci_u32_e64 v12, null, 0, v12, vcc_lo
	v_cmp_le_i32_e32 vcc_lo, s17, v11
	s_or_b32 s3, vcc_lo, s3
	s_waitcnt vmcnt(0)
	v_fmac_f32_e32 v21, v13, v25
	v_fmac_f32_e32 v20, v14, v25
	v_fma_f32 v21, -v14, v26, v21
	v_fmac_f32_e32 v20, v13, v26
	s_andn2_b32 exec_lo, exec_lo, s3
	s_cbranch_execz .LBB7_10
.LBB7_15:                               ;   Parent Loop BB7_8 Depth=1
                                        ;     Parent Loop BB7_12 Depth=2
                                        ; =>    This Inner Loop Header: Depth=3
	s_and_b32 vcc_lo, exec_lo, s22
	s_cbranch_vccz .LBB7_17
; %bb.16:                               ;   in Loop: Header=BB7_15 Depth=3
	v_ashrrev_i32_e32 v14, 31, v24
	v_add_co_u32 v13, vcc_lo, v9, v24
	v_add_co_ci_u32_e64 v14, null, v10, v14, vcc_lo
	s_cbranch_execnz .LBB7_14
	s_branch .LBB7_18
.LBB7_17:                               ;   in Loop: Header=BB7_15 Depth=3
                                        ; implicit-def: $vgpr13_vgpr14
.LBB7_18:                               ;   in Loop: Header=BB7_15 Depth=3
	v_add_co_u32 v13, vcc_lo, v22, v11
	v_add_co_ci_u32_e64 v14, null, v23, v12, vcc_lo
	s_branch .LBB7_14
.LBB7_19:                               ;   in Loop: Header=BB7_8 Depth=1
	ds_bpermute_b32 v9, v16, v21
	s_waitcnt lgkmcnt(2)
	ds_bpermute_b32 v10, v16, v20
	s_waitcnt lgkmcnt(1)
	v_add_f32_e32 v9, v21, v9
	s_waitcnt lgkmcnt(0)
	v_add_f32_e32 v10, v20, v10
	ds_bpermute_b32 v11, v17, v9
	ds_bpermute_b32 v12, v17, v10
	s_waitcnt lgkmcnt(1)
	v_add_f32_e32 v9, v9, v11
	s_waitcnt lgkmcnt(0)
	v_add_f32_e32 v10, v10, v12
	ds_bpermute_b32 v11, v18, v9
	;; [unrolled: 6-line block ×3, first 2 shown]
	ds_bpermute_b32 v12, v19, v11
	s_and_saveexec_b32 s2, s1
	s_cbranch_execz .LBB7_7
; %bb.20:                               ;   in Loop: Header=BB7_8 Depth=1
	s_waitcnt lgkmcnt(0)
	v_add_f32_e32 v11, v11, v12
	v_add_f32_e32 v12, v9, v10
	v_mul_f32_e64 v9, v11, -v2
	v_mul_f32_e32 v10, v1, v11
	v_add_nc_u32_e32 v11, s6, v5
	v_fmac_f32_e32 v9, v1, v12
	v_fmac_f32_e32 v10, v2, v12
	v_ashrrev_i32_e32 v12, 31, v11
	s_and_saveexec_b32 s3, s23
	s_xor_b32 s3, exec_lo, s3
	s_cbranch_execz .LBB7_22
; %bb.21:                               ;   in Loop: Header=BB7_8 Depth=1
	v_lshlrev_b64 v[11:12], 3, v[11:12]
	v_add_co_u32 v11, vcc_lo, s8, v11
	v_add_co_ci_u32_e64 v12, null, s9, v12, vcc_lo
	global_store_dwordx2 v[11:12], v[9:10], off
                                        ; implicit-def: $vgpr11
                                        ; implicit-def: $vgpr9
.LBB7_22:                               ;   in Loop: Header=BB7_8 Depth=1
	s_andn2_saveexec_b32 s3, s3
	s_cbranch_execz .LBB7_7
; %bb.23:                               ;   in Loop: Header=BB7_8 Depth=1
	v_lshlrev_b64 v[11:12], 3, v[11:12]
	v_add_co_u32 v11, vcc_lo, s8, v11
	v_add_co_ci_u32_e64 v12, null, s9, v12, vcc_lo
	global_load_dwordx2 v[13:14], v[11:12], off
	s_waitcnt vmcnt(0)
	v_fmac_f32_e32 v9, v3, v13
	v_fmac_f32_e32 v10, v4, v13
	v_fma_f32 v9, -v4, v14, v9
	v_fmac_f32_e32 v10, v3, v14
	global_store_dwordx2 v[11:12], v[9:10], off
	s_branch .LBB7_7
.LBB7_24:
	s_endpgm
	.section	.rodata,"a",@progbits
	.p2align	6, 0x0
	.amdhsa_kernel _ZN9rocsparseL22bsrxmvn_general_kernelILj256ELj16E21rocsparse_complex_numIfEiiS2_S2_S2_EEv20rocsparse_direction_NS_24const_host_device_scalarIT1_EET3_PKS7_PKT2_SC_S9_PKT4_S7_PKT5_S6_PT6_21rocsparse_index_base_b
		.amdhsa_group_segment_fixed_size 0
		.amdhsa_private_segment_fixed_size 0
		.amdhsa_kernarg_size 104
		.amdhsa_user_sgpr_count 6
		.amdhsa_user_sgpr_private_segment_buffer 1
		.amdhsa_user_sgpr_dispatch_ptr 0
		.amdhsa_user_sgpr_queue_ptr 0
		.amdhsa_user_sgpr_kernarg_segment_ptr 1
		.amdhsa_user_sgpr_dispatch_id 0
		.amdhsa_user_sgpr_flat_scratch_init 0
		.amdhsa_user_sgpr_private_segment_size 0
		.amdhsa_wavefront_size32 1
		.amdhsa_uses_dynamic_stack 0
		.amdhsa_system_sgpr_private_segment_wavefront_offset 0
		.amdhsa_system_sgpr_workgroup_id_x 1
		.amdhsa_system_sgpr_workgroup_id_y 0
		.amdhsa_system_sgpr_workgroup_id_z 0
		.amdhsa_system_sgpr_workgroup_info 0
		.amdhsa_system_vgpr_workitem_id 0
		.amdhsa_next_free_vgpr 27
		.amdhsa_next_free_sgpr 30
		.amdhsa_reserve_vcc 1
		.amdhsa_reserve_flat_scratch 0
		.amdhsa_float_round_mode_32 0
		.amdhsa_float_round_mode_16_64 0
		.amdhsa_float_denorm_mode_32 3
		.amdhsa_float_denorm_mode_16_64 3
		.amdhsa_dx10_clamp 1
		.amdhsa_ieee_mode 1
		.amdhsa_fp16_overflow 0
		.amdhsa_workgroup_processor_mode 1
		.amdhsa_memory_ordered 1
		.amdhsa_forward_progress 1
		.amdhsa_shared_vgpr_count 0
		.amdhsa_exception_fp_ieee_invalid_op 0
		.amdhsa_exception_fp_denorm_src 0
		.amdhsa_exception_fp_ieee_div_zero 0
		.amdhsa_exception_fp_ieee_overflow 0
		.amdhsa_exception_fp_ieee_underflow 0
		.amdhsa_exception_fp_ieee_inexact 0
		.amdhsa_exception_int_div_zero 0
	.end_amdhsa_kernel
	.section	.text._ZN9rocsparseL22bsrxmvn_general_kernelILj256ELj16E21rocsparse_complex_numIfEiiS2_S2_S2_EEv20rocsparse_direction_NS_24const_host_device_scalarIT1_EET3_PKS7_PKT2_SC_S9_PKT4_S7_PKT5_S6_PT6_21rocsparse_index_base_b,"axG",@progbits,_ZN9rocsparseL22bsrxmvn_general_kernelILj256ELj16E21rocsparse_complex_numIfEiiS2_S2_S2_EEv20rocsparse_direction_NS_24const_host_device_scalarIT1_EET3_PKS7_PKT2_SC_S9_PKT4_S7_PKT5_S6_PT6_21rocsparse_index_base_b,comdat
.Lfunc_end7:
	.size	_ZN9rocsparseL22bsrxmvn_general_kernelILj256ELj16E21rocsparse_complex_numIfEiiS2_S2_S2_EEv20rocsparse_direction_NS_24const_host_device_scalarIT1_EET3_PKS7_PKT2_SC_S9_PKT4_S7_PKT5_S6_PT6_21rocsparse_index_base_b, .Lfunc_end7-_ZN9rocsparseL22bsrxmvn_general_kernelILj256ELj16E21rocsparse_complex_numIfEiiS2_S2_S2_EEv20rocsparse_direction_NS_24const_host_device_scalarIT1_EET3_PKS7_PKT2_SC_S9_PKT4_S7_PKT5_S6_PT6_21rocsparse_index_base_b
                                        ; -- End function
	.set _ZN9rocsparseL22bsrxmvn_general_kernelILj256ELj16E21rocsparse_complex_numIfEiiS2_S2_S2_EEv20rocsparse_direction_NS_24const_host_device_scalarIT1_EET3_PKS7_PKT2_SC_S9_PKT4_S7_PKT5_S6_PT6_21rocsparse_index_base_b.num_vgpr, 27
	.set _ZN9rocsparseL22bsrxmvn_general_kernelILj256ELj16E21rocsparse_complex_numIfEiiS2_S2_S2_EEv20rocsparse_direction_NS_24const_host_device_scalarIT1_EET3_PKS7_PKT2_SC_S9_PKT4_S7_PKT5_S6_PT6_21rocsparse_index_base_b.num_agpr, 0
	.set _ZN9rocsparseL22bsrxmvn_general_kernelILj256ELj16E21rocsparse_complex_numIfEiiS2_S2_S2_EEv20rocsparse_direction_NS_24const_host_device_scalarIT1_EET3_PKS7_PKT2_SC_S9_PKT4_S7_PKT5_S6_PT6_21rocsparse_index_base_b.numbered_sgpr, 30
	.set _ZN9rocsparseL22bsrxmvn_general_kernelILj256ELj16E21rocsparse_complex_numIfEiiS2_S2_S2_EEv20rocsparse_direction_NS_24const_host_device_scalarIT1_EET3_PKS7_PKT2_SC_S9_PKT4_S7_PKT5_S6_PT6_21rocsparse_index_base_b.num_named_barrier, 0
	.set _ZN9rocsparseL22bsrxmvn_general_kernelILj256ELj16E21rocsparse_complex_numIfEiiS2_S2_S2_EEv20rocsparse_direction_NS_24const_host_device_scalarIT1_EET3_PKS7_PKT2_SC_S9_PKT4_S7_PKT5_S6_PT6_21rocsparse_index_base_b.private_seg_size, 0
	.set _ZN9rocsparseL22bsrxmvn_general_kernelILj256ELj16E21rocsparse_complex_numIfEiiS2_S2_S2_EEv20rocsparse_direction_NS_24const_host_device_scalarIT1_EET3_PKS7_PKT2_SC_S9_PKT4_S7_PKT5_S6_PT6_21rocsparse_index_base_b.uses_vcc, 1
	.set _ZN9rocsparseL22bsrxmvn_general_kernelILj256ELj16E21rocsparse_complex_numIfEiiS2_S2_S2_EEv20rocsparse_direction_NS_24const_host_device_scalarIT1_EET3_PKS7_PKT2_SC_S9_PKT4_S7_PKT5_S6_PT6_21rocsparse_index_base_b.uses_flat_scratch, 0
	.set _ZN9rocsparseL22bsrxmvn_general_kernelILj256ELj16E21rocsparse_complex_numIfEiiS2_S2_S2_EEv20rocsparse_direction_NS_24const_host_device_scalarIT1_EET3_PKS7_PKT2_SC_S9_PKT4_S7_PKT5_S6_PT6_21rocsparse_index_base_b.has_dyn_sized_stack, 0
	.set _ZN9rocsparseL22bsrxmvn_general_kernelILj256ELj16E21rocsparse_complex_numIfEiiS2_S2_S2_EEv20rocsparse_direction_NS_24const_host_device_scalarIT1_EET3_PKS7_PKT2_SC_S9_PKT4_S7_PKT5_S6_PT6_21rocsparse_index_base_b.has_recursion, 0
	.set _ZN9rocsparseL22bsrxmvn_general_kernelILj256ELj16E21rocsparse_complex_numIfEiiS2_S2_S2_EEv20rocsparse_direction_NS_24const_host_device_scalarIT1_EET3_PKS7_PKT2_SC_S9_PKT4_S7_PKT5_S6_PT6_21rocsparse_index_base_b.has_indirect_call, 0
	.section	.AMDGPU.csdata,"",@progbits
; Kernel info:
; codeLenInByte = 1292
; TotalNumSgprs: 32
; NumVgprs: 27
; ScratchSize: 0
; MemoryBound: 0
; FloatMode: 240
; IeeeMode: 1
; LDSByteSize: 0 bytes/workgroup (compile time only)
; SGPRBlocks: 0
; VGPRBlocks: 3
; NumSGPRsForWavesPerEU: 32
; NumVGPRsForWavesPerEU: 27
; Occupancy: 16
; WaveLimiterHint : 1
; COMPUTE_PGM_RSRC2:SCRATCH_EN: 0
; COMPUTE_PGM_RSRC2:USER_SGPR: 6
; COMPUTE_PGM_RSRC2:TRAP_HANDLER: 0
; COMPUTE_PGM_RSRC2:TGID_X_EN: 1
; COMPUTE_PGM_RSRC2:TGID_Y_EN: 0
; COMPUTE_PGM_RSRC2:TGID_Z_EN: 0
; COMPUTE_PGM_RSRC2:TIDIG_COMP_CNT: 0
	.section	.text._ZN9rocsparseL22bsrxmvn_general_kernelILj1024ELj32E21rocsparse_complex_numIfEiiS2_S2_S2_EEv20rocsparse_direction_NS_24const_host_device_scalarIT1_EET3_PKS7_PKT2_SC_S9_PKT4_S7_PKT5_S6_PT6_21rocsparse_index_base_b,"axG",@progbits,_ZN9rocsparseL22bsrxmvn_general_kernelILj1024ELj32E21rocsparse_complex_numIfEiiS2_S2_S2_EEv20rocsparse_direction_NS_24const_host_device_scalarIT1_EET3_PKS7_PKT2_SC_S9_PKT4_S7_PKT5_S6_PT6_21rocsparse_index_base_b,comdat
	.globl	_ZN9rocsparseL22bsrxmvn_general_kernelILj1024ELj32E21rocsparse_complex_numIfEiiS2_S2_S2_EEv20rocsparse_direction_NS_24const_host_device_scalarIT1_EET3_PKS7_PKT2_SC_S9_PKT4_S7_PKT5_S6_PT6_21rocsparse_index_base_b ; -- Begin function _ZN9rocsparseL22bsrxmvn_general_kernelILj1024ELj32E21rocsparse_complex_numIfEiiS2_S2_S2_EEv20rocsparse_direction_NS_24const_host_device_scalarIT1_EET3_PKS7_PKT2_SC_S9_PKT4_S7_PKT5_S6_PT6_21rocsparse_index_base_b
	.p2align	8
	.type	_ZN9rocsparseL22bsrxmvn_general_kernelILj1024ELj32E21rocsparse_complex_numIfEiiS2_S2_S2_EEv20rocsparse_direction_NS_24const_host_device_scalarIT1_EET3_PKS7_PKT2_SC_S9_PKT4_S7_PKT5_S6_PT6_21rocsparse_index_base_b,@function
_ZN9rocsparseL22bsrxmvn_general_kernelILj1024ELj32E21rocsparse_complex_numIfEiiS2_S2_S2_EEv20rocsparse_direction_NS_24const_host_device_scalarIT1_EET3_PKS7_PKT2_SC_S9_PKT4_S7_PKT5_S6_PT6_21rocsparse_index_base_b: ; @_ZN9rocsparseL22bsrxmvn_general_kernelILj1024ELj32E21rocsparse_complex_numIfEiiS2_S2_S2_EEv20rocsparse_direction_NS_24const_host_device_scalarIT1_EET3_PKS7_PKT2_SC_S9_PKT4_S7_PKT5_S6_PT6_21rocsparse_index_base_b
; %bb.0:
	s_clause 0x2
	s_load_dwordx2 s[16:17], s[4:5], 0x60
	s_load_dwordx2 s[0:1], s[4:5], 0x8
	;; [unrolled: 1-line block ×3, first 2 shown]
	s_add_u32 s7, s4, 8
	s_addc_u32 s8, s5, 0
	s_add_u32 s9, s4, 0x50
	s_addc_u32 s10, s5, 0
	s_waitcnt lgkmcnt(0)
	s_bitcmp1_b32 s17, 0
	s_cselect_b32 s0, s7, s0
	s_cselect_b32 s1, s8, s1
	v_mov_b32_e32 v1, s0
	v_mov_b32_e32 v2, s1
	s_cselect_b32 s0, s9, s2
	s_cselect_b32 s1, s10, s3
	v_mov_b32_e32 v3, s0
	v_mov_b32_e32 v4, s1
	flat_load_dwordx2 v[1:2], v[1:2]
	flat_load_dwordx2 v[3:4], v[3:4]
	s_waitcnt vmcnt(1) lgkmcnt(1)
	v_cmp_eq_f32_e32 vcc_lo, 0, v1
	v_cmp_eq_f32_e64 s0, 0, v2
	s_and_b32 s2, vcc_lo, s0
	s_mov_b32 s0, -1
	s_and_saveexec_b32 s1, s2
	s_cbranch_execz .LBB8_2
; %bb.1:
	s_waitcnt vmcnt(0) lgkmcnt(0)
	v_cmp_neq_f32_e32 vcc_lo, 1.0, v3
	v_cmp_neq_f32_e64 s0, 0, v4
	s_or_b32 s0, vcc_lo, s0
	s_orn2_b32 s0, s0, exec_lo
.LBB8_2:
	s_or_b32 exec_lo, exec_lo, s1
	s_and_saveexec_b32 s1, s0
	s_cbranch_execz .LBB8_24
; %bb.3:
	s_load_dwordx2 s[0:1], s[4:5], 0x18
	s_waitcnt lgkmcnt(0)
	s_cmp_eq_u64 s[0:1], 0
	s_cbranch_scc1 .LBB8_5
; %bb.4:
	s_ashr_i32 s7, s6, 31
	s_lshl_b64 s[2:3], s[6:7], 2
	s_add_u32 s0, s0, s2
	s_addc_u32 s1, s1, s3
	s_load_dword s0, s[0:1], 0x0
	s_waitcnt lgkmcnt(0)
	s_sub_i32 s6, s0, s16
.LBB8_5:
	s_load_dword s17, s[4:5], 0x40
	v_lshrrev_b32_e32 v5, 5, v0
	s_waitcnt lgkmcnt(0)
	v_cmp_gt_i32_e32 vcc_lo, s17, v5
	s_and_b32 exec_lo, exec_lo, vcc_lo
	s_cbranch_execz .LBB8_24
; %bb.6:
	s_load_dwordx8 s[8:15], s[4:5], 0x20
	s_ashr_i32 s7, s6, 31
	v_mbcnt_lo_u32_b32 v9, -1, 0
	s_lshl_b64 s[22:23], s[6:7], 2
	s_load_dword s26, s[4:5], 0x0
	v_and_b32_e32 v7, 31, v0
	v_mov_b32_e32 v6, 0
	v_xor_b32_e32 v10, 16, v9
	v_xor_b32_e32 v11, 8, v9
	;; [unrolled: 1-line block ×5, first 2 shown]
	s_mul_i32 s7, s17, s17
	v_mul_lo_u32 v0, s17, v5
	v_mul_lo_u32 v15, s17, v7
	s_waitcnt vmcnt(0)
	v_cmp_eq_f32_e32 vcc_lo, 0, v3
	v_cmp_eq_f32_e64 s2, 0, v4
	v_cmp_gt_u32_e64 s0, s17, v7
	v_mov_b32_e32 v8, v6
	s_mul_i32 s6, s6, s17
	s_waitcnt lgkmcnt(0)
	s_add_u32 s24, s8, s22
	s_addc_u32 s25, s9, s23
	s_load_dword s21, s[24:25], 0x0
	s_clause 0x1
	s_load_dwordx2 s[8:9], s[4:5], 0x58
	s_load_dwordx2 s[18:19], s[4:5], 0x48
	s_mul_hi_u32 s5, s17, s17
	s_mov_b32 s4, 0
	s_waitcnt lgkmcnt(0)
	s_sub_i32 s20, s21, s16
	s_add_u32 s1, s24, 4
	s_addc_u32 s3, s25, 0
	s_add_u32 s22, s10, s22
	s_addc_u32 s23, s11, s23
	s_cmp_eq_u64 s[10:11], 0
	s_cselect_b32 s11, s3, s23
	v_cmp_gt_i32_e64 s3, 32, v10
	s_cselect_b32 s10, s1, s22
	s_mul_hi_u32 s23, s20, s7
	s_load_dword s11, s[10:11], 0x0
	v_cmp_eq_u32_e64 s1, 31, v7
	v_cndmask_b32_e64 v10, v9, v10, s3
	v_cmp_gt_i32_e64 s3, 32, v11
	v_lshlrev_b32_e32 v16, 2, v10
	v_cndmask_b32_e64 v11, v9, v11, s3
	v_cmp_gt_i32_e64 s3, 32, v12
	v_lshlrev_b32_e32 v17, 2, v11
	;; [unrolled: 3-line block ×3, first 2 shown]
	v_cndmask_b32_e64 v13, v9, v13, s3
	v_cmp_gt_i32_e64 s3, 32, v14
	s_waitcnt lgkmcnt(0)
	s_sub_i32 s10, s11, s16
	s_cmp_lt_i32 s21, s11
	s_mul_i32 s11, s20, s7
	s_cselect_b32 s21, -1, 0
	v_cndmask_b32_e64 v9, v9, v14, s3
	s_cmp_lg_u32 s26, 0
	s_mul_i32 s3, s20, s5
	s_cselect_b32 s22, -1, 0
	s_ashr_i32 s24, s20, 31
	v_lshlrev_b32_e32 v19, 2, v13
	v_lshlrev_b32_e32 v20, 2, v9
	s_add_i32 s3, s23, s3
	s_mul_i32 s24, s24, s7
	s_and_b32 s23, vcc_lo, s2
	s_add_i32 s24, s3, s24
	s_lshl_b32 s25, s17, 5
	s_branch .LBB8_8
.LBB8_7:                                ;   in Loop: Header=BB8_8 Depth=1
	s_or_b32 exec_lo, exec_lo, s2
	v_add_nc_u32_e32 v5, 32, v5
	v_add_nc_u32_e32 v0, s25, v0
	v_cmp_le_i32_e32 vcc_lo, s17, v5
	s_or_b32 s4, vcc_lo, s4
	s_andn2_b32 exec_lo, exec_lo, s4
	s_cbranch_execz .LBB8_24
.LBB8_8:                                ; =>This Loop Header: Depth=1
                                        ;     Child Loop BB8_12 Depth 2
                                        ;       Child Loop BB8_15 Depth 3
	v_mov_b32_e32 v21, 0
	v_mov_b32_e32 v22, 0
	s_andn2_b32 vcc_lo, exec_lo, s21
	s_cbranch_vccnz .LBB8_19
; %bb.9:                                ;   in Loop: Header=BB8_8 Depth=1
	v_ashrrev_i32_e32 v9, 31, v0
	v_add_co_u32 v23, vcc_lo, s11, v0
	v_mov_b32_e32 v21, 0
	v_mov_b32_e32 v22, 0
	v_add_co_ci_u32_e64 v24, null, s24, v9, vcc_lo
	s_mov_b32 s2, s20
	s_branch .LBB8_12
.LBB8_10:                               ;   in Loop: Header=BB8_12 Depth=2
	s_or_b32 exec_lo, exec_lo, s3
.LBB8_11:                               ;   in Loop: Header=BB8_12 Depth=2
	s_or_b32 exec_lo, exec_lo, s26
	v_add_co_u32 v23, vcc_lo, v23, s7
	v_add_co_ci_u32_e64 v24, null, s5, v24, vcc_lo
	s_add_i32 s2, s2, 1
	s_cmp_ge_i32 s2, s10
	s_cbranch_scc1 .LBB8_19
.LBB8_12:                               ;   Parent Loop BB8_8 Depth=1
                                        ; =>  This Loop Header: Depth=2
                                        ;       Child Loop BB8_15 Depth 3
	s_and_saveexec_b32 s26, s0
	s_cbranch_execz .LBB8_11
; %bb.13:                               ;   in Loop: Header=BB8_12 Depth=2
	s_ashr_i32 s3, s2, 31
	s_waitcnt lgkmcnt(1)
	v_mad_u64_u32 v[9:10], null, s7, s2, v[5:6]
	s_lshl_b64 s[28:29], s[2:3], 2
	s_mul_i32 s3, s7, s3
	s_add_u32 s28, s12, s28
	s_addc_u32 s29, s13, s29
	s_waitcnt lgkmcnt(0)
	v_mov_b32_e32 v12, v8
	s_load_dword s27, s[28:29], 0x0
	s_mul_i32 s28, s5, s2
	v_mov_b32_e32 v25, v15
	v_mov_b32_e32 v11, v7
	v_add3_u32 v10, s3, s28, v10
	s_waitcnt lgkmcnt(0)
	s_sub_i32 s3, s27, s16
	s_mul_i32 s27, s3, s17
	s_mov_b32 s3, 0
	s_branch .LBB8_15
.LBB8_14:                               ;   in Loop: Header=BB8_15 Depth=3
	v_add_nc_u32_e32 v26, s27, v11
	v_lshlrev_b64 v[13:14], 3, v[13:14]
	v_add_nc_u32_e32 v25, s25, v25
	v_ashrrev_i32_e32 v27, 31, v26
	v_add_co_u32 v13, vcc_lo, s14, v13
	v_add_co_ci_u32_e64 v14, null, s15, v14, vcc_lo
	v_lshlrev_b64 v[26:27], 3, v[26:27]
	v_add_co_u32 v26, vcc_lo, s18, v26
	v_add_co_ci_u32_e64 v27, null, s19, v27, vcc_lo
	v_add_co_u32 v11, vcc_lo, v11, 32
	global_load_dwordx2 v[13:14], v[13:14], off
	global_load_dwordx2 v[26:27], v[26:27], off
	v_add_co_ci_u32_e64 v12, null, 0, v12, vcc_lo
	v_cmp_le_i32_e32 vcc_lo, s17, v11
	s_or_b32 s3, vcc_lo, s3
	s_waitcnt vmcnt(0)
	v_fmac_f32_e32 v22, v13, v26
	v_fmac_f32_e32 v21, v14, v26
	v_fma_f32 v22, -v14, v27, v22
	v_fmac_f32_e32 v21, v13, v27
	s_andn2_b32 exec_lo, exec_lo, s3
	s_cbranch_execz .LBB8_10
.LBB8_15:                               ;   Parent Loop BB8_8 Depth=1
                                        ;     Parent Loop BB8_12 Depth=2
                                        ; =>    This Inner Loop Header: Depth=3
	s_and_b32 vcc_lo, exec_lo, s22
	s_cbranch_vccz .LBB8_17
; %bb.16:                               ;   in Loop: Header=BB8_15 Depth=3
	v_ashrrev_i32_e32 v14, 31, v25
	v_add_co_u32 v13, vcc_lo, v9, v25
	v_add_co_ci_u32_e64 v14, null, v10, v14, vcc_lo
	s_cbranch_execnz .LBB8_14
	s_branch .LBB8_18
.LBB8_17:                               ;   in Loop: Header=BB8_15 Depth=3
                                        ; implicit-def: $vgpr13_vgpr14
.LBB8_18:                               ;   in Loop: Header=BB8_15 Depth=3
	v_add_co_u32 v13, vcc_lo, v23, v11
	v_add_co_ci_u32_e64 v14, null, v24, v12, vcc_lo
	s_branch .LBB8_14
.LBB8_19:                               ;   in Loop: Header=BB8_8 Depth=1
	ds_bpermute_b32 v9, v16, v22
	s_waitcnt lgkmcnt(2)
	ds_bpermute_b32 v10, v16, v21
	s_waitcnt lgkmcnt(1)
	v_add_f32_e32 v9, v22, v9
	s_waitcnt lgkmcnt(0)
	v_add_f32_e32 v10, v21, v10
	ds_bpermute_b32 v11, v17, v9
	ds_bpermute_b32 v12, v17, v10
	s_waitcnt lgkmcnt(1)
	v_add_f32_e32 v9, v9, v11
	s_waitcnt lgkmcnt(0)
	v_add_f32_e32 v10, v10, v12
	ds_bpermute_b32 v11, v18, v9
	;; [unrolled: 6-line block ×4, first 2 shown]
	ds_bpermute_b32 v12, v20, v11
	s_and_saveexec_b32 s2, s1
	s_cbranch_execz .LBB8_7
; %bb.20:                               ;   in Loop: Header=BB8_8 Depth=1
	s_waitcnt lgkmcnt(0)
	v_add_f32_e32 v11, v11, v12
	v_add_f32_e32 v12, v9, v10
	v_mul_f32_e64 v9, v11, -v2
	v_mul_f32_e32 v10, v1, v11
	v_add_nc_u32_e32 v11, s6, v5
	v_fmac_f32_e32 v9, v1, v12
	v_fmac_f32_e32 v10, v2, v12
	v_ashrrev_i32_e32 v12, 31, v11
	s_and_saveexec_b32 s3, s23
	s_xor_b32 s3, exec_lo, s3
	s_cbranch_execz .LBB8_22
; %bb.21:                               ;   in Loop: Header=BB8_8 Depth=1
	v_lshlrev_b64 v[11:12], 3, v[11:12]
	v_add_co_u32 v11, vcc_lo, s8, v11
	v_add_co_ci_u32_e64 v12, null, s9, v12, vcc_lo
	global_store_dwordx2 v[11:12], v[9:10], off
                                        ; implicit-def: $vgpr11
                                        ; implicit-def: $vgpr9
.LBB8_22:                               ;   in Loop: Header=BB8_8 Depth=1
	s_andn2_saveexec_b32 s3, s3
	s_cbranch_execz .LBB8_7
; %bb.23:                               ;   in Loop: Header=BB8_8 Depth=1
	v_lshlrev_b64 v[11:12], 3, v[11:12]
	v_add_co_u32 v11, vcc_lo, s8, v11
	v_add_co_ci_u32_e64 v12, null, s9, v12, vcc_lo
	global_load_dwordx2 v[13:14], v[11:12], off
	s_waitcnt vmcnt(0)
	v_fmac_f32_e32 v9, v3, v13
	v_fmac_f32_e32 v10, v4, v13
	v_fma_f32 v9, -v4, v14, v9
	v_fmac_f32_e32 v10, v3, v14
	global_store_dwordx2 v[11:12], v[9:10], off
	s_branch .LBB8_7
.LBB8_24:
	s_endpgm
	.section	.rodata,"a",@progbits
	.p2align	6, 0x0
	.amdhsa_kernel _ZN9rocsparseL22bsrxmvn_general_kernelILj1024ELj32E21rocsparse_complex_numIfEiiS2_S2_S2_EEv20rocsparse_direction_NS_24const_host_device_scalarIT1_EET3_PKS7_PKT2_SC_S9_PKT4_S7_PKT5_S6_PT6_21rocsparse_index_base_b
		.amdhsa_group_segment_fixed_size 0
		.amdhsa_private_segment_fixed_size 0
		.amdhsa_kernarg_size 104
		.amdhsa_user_sgpr_count 6
		.amdhsa_user_sgpr_private_segment_buffer 1
		.amdhsa_user_sgpr_dispatch_ptr 0
		.amdhsa_user_sgpr_queue_ptr 0
		.amdhsa_user_sgpr_kernarg_segment_ptr 1
		.amdhsa_user_sgpr_dispatch_id 0
		.amdhsa_user_sgpr_flat_scratch_init 0
		.amdhsa_user_sgpr_private_segment_size 0
		.amdhsa_wavefront_size32 1
		.amdhsa_uses_dynamic_stack 0
		.amdhsa_system_sgpr_private_segment_wavefront_offset 0
		.amdhsa_system_sgpr_workgroup_id_x 1
		.amdhsa_system_sgpr_workgroup_id_y 0
		.amdhsa_system_sgpr_workgroup_id_z 0
		.amdhsa_system_sgpr_workgroup_info 0
		.amdhsa_system_vgpr_workitem_id 0
		.amdhsa_next_free_vgpr 28
		.amdhsa_next_free_sgpr 30
		.amdhsa_reserve_vcc 1
		.amdhsa_reserve_flat_scratch 0
		.amdhsa_float_round_mode_32 0
		.amdhsa_float_round_mode_16_64 0
		.amdhsa_float_denorm_mode_32 3
		.amdhsa_float_denorm_mode_16_64 3
		.amdhsa_dx10_clamp 1
		.amdhsa_ieee_mode 1
		.amdhsa_fp16_overflow 0
		.amdhsa_workgroup_processor_mode 1
		.amdhsa_memory_ordered 1
		.amdhsa_forward_progress 1
		.amdhsa_shared_vgpr_count 0
		.amdhsa_exception_fp_ieee_invalid_op 0
		.amdhsa_exception_fp_denorm_src 0
		.amdhsa_exception_fp_ieee_div_zero 0
		.amdhsa_exception_fp_ieee_overflow 0
		.amdhsa_exception_fp_ieee_underflow 0
		.amdhsa_exception_fp_ieee_inexact 0
		.amdhsa_exception_int_div_zero 0
	.end_amdhsa_kernel
	.section	.text._ZN9rocsparseL22bsrxmvn_general_kernelILj1024ELj32E21rocsparse_complex_numIfEiiS2_S2_S2_EEv20rocsparse_direction_NS_24const_host_device_scalarIT1_EET3_PKS7_PKT2_SC_S9_PKT4_S7_PKT5_S6_PT6_21rocsparse_index_base_b,"axG",@progbits,_ZN9rocsparseL22bsrxmvn_general_kernelILj1024ELj32E21rocsparse_complex_numIfEiiS2_S2_S2_EEv20rocsparse_direction_NS_24const_host_device_scalarIT1_EET3_PKS7_PKT2_SC_S9_PKT4_S7_PKT5_S6_PT6_21rocsparse_index_base_b,comdat
.Lfunc_end8:
	.size	_ZN9rocsparseL22bsrxmvn_general_kernelILj1024ELj32E21rocsparse_complex_numIfEiiS2_S2_S2_EEv20rocsparse_direction_NS_24const_host_device_scalarIT1_EET3_PKS7_PKT2_SC_S9_PKT4_S7_PKT5_S6_PT6_21rocsparse_index_base_b, .Lfunc_end8-_ZN9rocsparseL22bsrxmvn_general_kernelILj1024ELj32E21rocsparse_complex_numIfEiiS2_S2_S2_EEv20rocsparse_direction_NS_24const_host_device_scalarIT1_EET3_PKS7_PKT2_SC_S9_PKT4_S7_PKT5_S6_PT6_21rocsparse_index_base_b
                                        ; -- End function
	.set _ZN9rocsparseL22bsrxmvn_general_kernelILj1024ELj32E21rocsparse_complex_numIfEiiS2_S2_S2_EEv20rocsparse_direction_NS_24const_host_device_scalarIT1_EET3_PKS7_PKT2_SC_S9_PKT4_S7_PKT5_S6_PT6_21rocsparse_index_base_b.num_vgpr, 28
	.set _ZN9rocsparseL22bsrxmvn_general_kernelILj1024ELj32E21rocsparse_complex_numIfEiiS2_S2_S2_EEv20rocsparse_direction_NS_24const_host_device_scalarIT1_EET3_PKS7_PKT2_SC_S9_PKT4_S7_PKT5_S6_PT6_21rocsparse_index_base_b.num_agpr, 0
	.set _ZN9rocsparseL22bsrxmvn_general_kernelILj1024ELj32E21rocsparse_complex_numIfEiiS2_S2_S2_EEv20rocsparse_direction_NS_24const_host_device_scalarIT1_EET3_PKS7_PKT2_SC_S9_PKT4_S7_PKT5_S6_PT6_21rocsparse_index_base_b.numbered_sgpr, 30
	.set _ZN9rocsparseL22bsrxmvn_general_kernelILj1024ELj32E21rocsparse_complex_numIfEiiS2_S2_S2_EEv20rocsparse_direction_NS_24const_host_device_scalarIT1_EET3_PKS7_PKT2_SC_S9_PKT4_S7_PKT5_S6_PT6_21rocsparse_index_base_b.num_named_barrier, 0
	.set _ZN9rocsparseL22bsrxmvn_general_kernelILj1024ELj32E21rocsparse_complex_numIfEiiS2_S2_S2_EEv20rocsparse_direction_NS_24const_host_device_scalarIT1_EET3_PKS7_PKT2_SC_S9_PKT4_S7_PKT5_S6_PT6_21rocsparse_index_base_b.private_seg_size, 0
	.set _ZN9rocsparseL22bsrxmvn_general_kernelILj1024ELj32E21rocsparse_complex_numIfEiiS2_S2_S2_EEv20rocsparse_direction_NS_24const_host_device_scalarIT1_EET3_PKS7_PKT2_SC_S9_PKT4_S7_PKT5_S6_PT6_21rocsparse_index_base_b.uses_vcc, 1
	.set _ZN9rocsparseL22bsrxmvn_general_kernelILj1024ELj32E21rocsparse_complex_numIfEiiS2_S2_S2_EEv20rocsparse_direction_NS_24const_host_device_scalarIT1_EET3_PKS7_PKT2_SC_S9_PKT4_S7_PKT5_S6_PT6_21rocsparse_index_base_b.uses_flat_scratch, 0
	.set _ZN9rocsparseL22bsrxmvn_general_kernelILj1024ELj32E21rocsparse_complex_numIfEiiS2_S2_S2_EEv20rocsparse_direction_NS_24const_host_device_scalarIT1_EET3_PKS7_PKT2_SC_S9_PKT4_S7_PKT5_S6_PT6_21rocsparse_index_base_b.has_dyn_sized_stack, 0
	.set _ZN9rocsparseL22bsrxmvn_general_kernelILj1024ELj32E21rocsparse_complex_numIfEiiS2_S2_S2_EEv20rocsparse_direction_NS_24const_host_device_scalarIT1_EET3_PKS7_PKT2_SC_S9_PKT4_S7_PKT5_S6_PT6_21rocsparse_index_base_b.has_recursion, 0
	.set _ZN9rocsparseL22bsrxmvn_general_kernelILj1024ELj32E21rocsparse_complex_numIfEiiS2_S2_S2_EEv20rocsparse_direction_NS_24const_host_device_scalarIT1_EET3_PKS7_PKT2_SC_S9_PKT4_S7_PKT5_S6_PT6_21rocsparse_index_base_b.has_indirect_call, 0
	.section	.AMDGPU.csdata,"",@progbits
; Kernel info:
; codeLenInByte = 1348
; TotalNumSgprs: 32
; NumVgprs: 28
; ScratchSize: 0
; MemoryBound: 0
; FloatMode: 240
; IeeeMode: 1
; LDSByteSize: 0 bytes/workgroup (compile time only)
; SGPRBlocks: 0
; VGPRBlocks: 3
; NumSGPRsForWavesPerEU: 32
; NumVGPRsForWavesPerEU: 28
; Occupancy: 16
; WaveLimiterHint : 1
; COMPUTE_PGM_RSRC2:SCRATCH_EN: 0
; COMPUTE_PGM_RSRC2:USER_SGPR: 6
; COMPUTE_PGM_RSRC2:TRAP_HANDLER: 0
; COMPUTE_PGM_RSRC2:TGID_X_EN: 1
; COMPUTE_PGM_RSRC2:TGID_Y_EN: 0
; COMPUTE_PGM_RSRC2:TGID_Z_EN: 0
; COMPUTE_PGM_RSRC2:TIDIG_COMP_CNT: 0
	.section	.text._ZN9rocsparseL22bsrxmvn_general_kernelILj64ELj8E21rocsparse_complex_numIdEiiS2_S2_S2_EEv20rocsparse_direction_NS_24const_host_device_scalarIT1_EET3_PKS7_PKT2_SC_S9_PKT4_S7_PKT5_S6_PT6_21rocsparse_index_base_b,"axG",@progbits,_ZN9rocsparseL22bsrxmvn_general_kernelILj64ELj8E21rocsparse_complex_numIdEiiS2_S2_S2_EEv20rocsparse_direction_NS_24const_host_device_scalarIT1_EET3_PKS7_PKT2_SC_S9_PKT4_S7_PKT5_S6_PT6_21rocsparse_index_base_b,comdat
	.globl	_ZN9rocsparseL22bsrxmvn_general_kernelILj64ELj8E21rocsparse_complex_numIdEiiS2_S2_S2_EEv20rocsparse_direction_NS_24const_host_device_scalarIT1_EET3_PKS7_PKT2_SC_S9_PKT4_S7_PKT5_S6_PT6_21rocsparse_index_base_b ; -- Begin function _ZN9rocsparseL22bsrxmvn_general_kernelILj64ELj8E21rocsparse_complex_numIdEiiS2_S2_S2_EEv20rocsparse_direction_NS_24const_host_device_scalarIT1_EET3_PKS7_PKT2_SC_S9_PKT4_S7_PKT5_S6_PT6_21rocsparse_index_base_b
	.p2align	8
	.type	_ZN9rocsparseL22bsrxmvn_general_kernelILj64ELj8E21rocsparse_complex_numIdEiiS2_S2_S2_EEv20rocsparse_direction_NS_24const_host_device_scalarIT1_EET3_PKS7_PKT2_SC_S9_PKT4_S7_PKT5_S6_PT6_21rocsparse_index_base_b,@function
_ZN9rocsparseL22bsrxmvn_general_kernelILj64ELj8E21rocsparse_complex_numIdEiiS2_S2_S2_EEv20rocsparse_direction_NS_24const_host_device_scalarIT1_EET3_PKS7_PKT2_SC_S9_PKT4_S7_PKT5_S6_PT6_21rocsparse_index_base_b: ; @_ZN9rocsparseL22bsrxmvn_general_kernelILj64ELj8E21rocsparse_complex_numIdEiiS2_S2_S2_EEv20rocsparse_direction_NS_24const_host_device_scalarIT1_EET3_PKS7_PKT2_SC_S9_PKT4_S7_PKT5_S6_PT6_21rocsparse_index_base_b
; %bb.0:
	s_clause 0x1
	s_load_dwordx2 s[16:17], s[4:5], 0x70
	s_load_dwordx2 s[0:1], s[4:5], 0x8
	s_add_u32 s7, s4, 8
	s_addc_u32 s8, s5, 0
	s_add_u32 s9, s4, 0x58
	s_addc_u32 s10, s5, 0
	s_load_dwordx2 s[2:3], s[4:5], 0x58
	s_waitcnt lgkmcnt(0)
	s_bitcmp1_b32 s17, 0
	s_cselect_b32 s0, s7, s0
	s_cselect_b32 s1, s8, s1
	v_mov_b32_e32 v1, s0
	v_mov_b32_e32 v2, s1
	s_cselect_b32 s0, s9, s2
	s_cselect_b32 s1, s10, s3
	v_mov_b32_e32 v5, s0
	v_mov_b32_e32 v6, s1
	flat_load_dwordx4 v[1:4], v[1:2]
	flat_load_dwordx4 v[5:8], v[5:6]
	s_waitcnt vmcnt(1) lgkmcnt(1)
	v_cmp_eq_f64_e32 vcc_lo, 0, v[1:2]
	v_cmp_eq_f64_e64 s0, 0, v[3:4]
	s_and_b32 s2, vcc_lo, s0
	s_mov_b32 s0, -1
	s_and_saveexec_b32 s1, s2
	s_cbranch_execz .LBB9_2
; %bb.1:
	s_waitcnt vmcnt(0) lgkmcnt(0)
	v_cmp_neq_f64_e32 vcc_lo, 1.0, v[5:6]
	v_cmp_neq_f64_e64 s0, 0, v[7:8]
	s_or_b32 s0, vcc_lo, s0
	s_orn2_b32 s0, s0, exec_lo
.LBB9_2:
	s_or_b32 exec_lo, exec_lo, s1
	s_and_saveexec_b32 s1, s0
	s_cbranch_execz .LBB9_24
; %bb.3:
	s_load_dwordx2 s[0:1], s[4:5], 0x20
	s_waitcnt lgkmcnt(0)
	s_cmp_eq_u64 s[0:1], 0
	s_cbranch_scc1 .LBB9_5
; %bb.4:
	s_ashr_i32 s7, s6, 31
	s_lshl_b64 s[2:3], s[6:7], 2
	s_add_u32 s0, s0, s2
	s_addc_u32 s1, s1, s3
	s_load_dword s0, s[0:1], 0x0
	s_waitcnt lgkmcnt(0)
	s_sub_i32 s6, s0, s16
.LBB9_5:
	s_load_dword s17, s[4:5], 0x48
	v_lshrrev_b32_e32 v13, 3, v0
	s_waitcnt lgkmcnt(0)
	v_cmp_gt_i32_e32 vcc_lo, s17, v13
	s_and_b32 exec_lo, exec_lo, vcc_lo
	s_cbranch_execz .LBB9_24
; %bb.6:
	s_load_dwordx8 s[8:15], s[4:5], 0x28
	s_ashr_i32 s7, s6, 31
	v_mbcnt_lo_u32_b32 v9, -1, 0
	s_lshl_b64 s[0:1], s[6:7], 2
	s_load_dword s24, s[4:5], 0x0
	s_waitcnt vmcnt(0)
	v_cmp_eq_f64_e32 vcc_lo, 0, v[5:6]
	v_cmp_eq_f64_e64 s2, 0, v[7:8]
	v_xor_b32_e32 v10, 4, v9
	v_xor_b32_e32 v11, 2, v9
	;; [unrolled: 1-line block ×3, first 2 shown]
	v_and_b32_e32 v15, 7, v0
	v_mov_b32_e32 v14, 0
	s_mul_i32 s7, s17, s17
	v_mul_lo_u32 v0, s17, v13
	s_mul_i32 s6, s6, s17
	v_mul_lo_u32 v23, s17, v15
	v_mov_b32_e32 v16, v14
	s_waitcnt lgkmcnt(0)
	s_add_u32 s22, s8, s0
	s_addc_u32 s23, s9, s1
	s_load_dword s21, s[22:23], 0x0
	s_clause 0x1
	s_load_dwordx2 s[8:9], s[4:5], 0x68
	s_load_dwordx2 s[18:19], s[4:5], 0x50
	s_mul_hi_u32 s5, s17, s17
	s_mov_b32 s4, 0
	s_waitcnt lgkmcnt(0)
	s_sub_i32 s20, s21, s16
	s_add_u32 s3, s22, 4
	s_addc_u32 s22, s23, 0
	s_add_u32 s0, s10, s0
	s_addc_u32 s1, s11, s1
	s_cmp_eq_u64 s[10:11], 0
	s_mul_hi_u32 s23, s20, s7
	s_cselect_b32 s1, s22, s1
	s_cselect_b32 s0, s3, s0
	v_cmp_gt_i32_e64 s3, 32, v10
	s_load_dword s11, s[0:1], 0x0
	v_cmp_gt_u32_e64 s0, s17, v15
	v_cmp_eq_u32_e64 s1, 7, v15
	v_cndmask_b32_e64 v10, v9, v10, s3
	v_cmp_gt_i32_e64 s3, 32, v11
	v_lshlrev_b32_e32 v24, 2, v10
	v_cndmask_b32_e64 v11, v9, v11, s3
	v_cmp_gt_i32_e64 s3, 32, v12
	v_lshlrev_b32_e32 v25, 2, v11
	v_cndmask_b32_e64 v9, v9, v12, s3
	s_mul_i32 s3, s20, s5
	s_waitcnt lgkmcnt(0)
	s_sub_i32 s10, s11, s16
	s_cmp_lt_i32 s21, s11
	v_lshlrev_b32_e32 v26, 2, v9
	s_cselect_b32 s21, -1, 0
	s_cmp_lg_u32 s24, 0
	s_mul_i32 s11, s20, s7
	s_cselect_b32 s22, -1, 0
	s_ashr_i32 s24, s20, 31
	s_add_i32 s3, s23, s3
	s_mul_i32 s24, s24, s7
	s_and_b32 s23, vcc_lo, s2
	s_add_i32 s24, s3, s24
	s_lshl_b32 s25, s17, 3
	s_branch .LBB9_8
.LBB9_7:                                ;   in Loop: Header=BB9_8 Depth=1
	s_or_b32 exec_lo, exec_lo, s2
	v_add_nc_u32_e32 v13, 8, v13
	v_add_nc_u32_e32 v0, s25, v0
	v_cmp_le_i32_e32 vcc_lo, s17, v13
	s_or_b32 s4, vcc_lo, s4
	s_andn2_b32 exec_lo, exec_lo, s4
	s_cbranch_execz .LBB9_24
.LBB9_8:                                ; =>This Loop Header: Depth=1
                                        ;     Child Loop BB9_12 Depth 2
                                        ;       Child Loop BB9_15 Depth 3
	v_mov_b32_e32 v9, 0
	v_mov_b32_e32 v11, 0
	;; [unrolled: 1-line block ×4, first 2 shown]
	s_andn2_b32 vcc_lo, exec_lo, s21
	s_cbranch_vccnz .LBB9_19
; %bb.9:                                ;   in Loop: Header=BB9_8 Depth=1
	s_waitcnt lgkmcnt(3)
	v_ashrrev_i32_e32 v17, 31, v0
	v_add_co_u32 v27, vcc_lo, s11, v0
	v_mov_b32_e32 v9, 0
	v_mov_b32_e32 v11, 0
	;; [unrolled: 1-line block ×4, first 2 shown]
	v_add_co_ci_u32_e64 v28, null, s24, v17, vcc_lo
	s_mov_b32 s2, s20
	s_branch .LBB9_12
.LBB9_10:                               ;   in Loop: Header=BB9_12 Depth=2
	s_or_b32 exec_lo, exec_lo, s3
.LBB9_11:                               ;   in Loop: Header=BB9_12 Depth=2
	s_or_b32 exec_lo, exec_lo, s26
	v_add_co_u32 v27, vcc_lo, v27, s7
	v_add_co_ci_u32_e64 v28, null, s5, v28, vcc_lo
	s_add_i32 s2, s2, 1
	s_cmp_ge_i32 s2, s10
	s_cbranch_scc1 .LBB9_19
.LBB9_12:                               ;   Parent Loop BB9_8 Depth=1
                                        ; =>  This Loop Header: Depth=2
                                        ;       Child Loop BB9_15 Depth 3
	s_and_saveexec_b32 s26, s0
	s_cbranch_execz .LBB9_11
; %bb.13:                               ;   in Loop: Header=BB9_12 Depth=2
	s_ashr_i32 s3, s2, 31
	s_waitcnt lgkmcnt(2)
	v_mad_u64_u32 v[17:18], null, s7, s2, v[13:14]
	s_lshl_b64 s[28:29], s[2:3], 2
	s_mul_i32 s3, s7, s3
	s_add_u32 s28, s12, s28
	s_addc_u32 s29, s13, s29
	s_waitcnt lgkmcnt(0)
	v_mov_b32_e32 v20, v16
	s_load_dword s27, s[28:29], 0x0
	s_mul_i32 s28, s5, s2
	v_mov_b32_e32 v29, v23
	v_mov_b32_e32 v19, v15
	v_add3_u32 v18, s3, s28, v18
	s_waitcnt lgkmcnt(0)
	s_sub_i32 s3, s27, s16
	s_mul_i32 s27, s3, s17
	s_mov_b32 s3, 0
	s_branch .LBB9_15
.LBB9_14:                               ;   in Loop: Header=BB9_15 Depth=3
	v_add_nc_u32_e32 v30, s27, v19
	v_lshlrev_b64 v[21:22], 4, v[21:22]
	v_add_nc_u32_e32 v29, s25, v29
	v_ashrrev_i32_e32 v31, 31, v30
	v_add_co_u32 v21, vcc_lo, s14, v21
	v_add_co_ci_u32_e64 v22, null, s15, v22, vcc_lo
	v_lshlrev_b64 v[30:31], 4, v[30:31]
	v_add_co_u32 v34, vcc_lo, s18, v30
	v_add_co_ci_u32_e64 v35, null, s19, v31, vcc_lo
	v_add_co_u32 v19, vcc_lo, v19, 8
	global_load_dwordx4 v[30:33], v[21:22], off
	global_load_dwordx4 v[34:37], v[34:35], off
	v_add_co_ci_u32_e64 v20, null, 0, v20, vcc_lo
	v_cmp_le_i32_e32 vcc_lo, s17, v19
	s_or_b32 s3, vcc_lo, s3
	s_waitcnt vmcnt(0)
	v_fma_f64 v[11:12], v[30:31], v[34:35], v[11:12]
	v_fma_f64 v[9:10], v[32:33], v[34:35], v[9:10]
	v_fma_f64 v[11:12], -v[32:33], v[36:37], v[11:12]
	v_fma_f64 v[9:10], v[30:31], v[36:37], v[9:10]
	s_andn2_b32 exec_lo, exec_lo, s3
	s_cbranch_execz .LBB9_10
.LBB9_15:                               ;   Parent Loop BB9_8 Depth=1
                                        ;     Parent Loop BB9_12 Depth=2
                                        ; =>    This Inner Loop Header: Depth=3
	s_and_b32 vcc_lo, exec_lo, s22
	s_cbranch_vccz .LBB9_17
; %bb.16:                               ;   in Loop: Header=BB9_15 Depth=3
	v_ashrrev_i32_e32 v22, 31, v29
	v_add_co_u32 v21, vcc_lo, v17, v29
	v_add_co_ci_u32_e64 v22, null, v18, v22, vcc_lo
	s_cbranch_execnz .LBB9_14
	s_branch .LBB9_18
.LBB9_17:                               ;   in Loop: Header=BB9_15 Depth=3
                                        ; implicit-def: $vgpr21_vgpr22
.LBB9_18:                               ;   in Loop: Header=BB9_15 Depth=3
	v_add_co_u32 v21, vcc_lo, v27, v19
	v_add_co_ci_u32_e64 v22, null, v28, v20, vcc_lo
	s_branch .LBB9_14
.LBB9_19:                               ;   in Loop: Header=BB9_8 Depth=1
	s_waitcnt lgkmcnt(3)
	ds_bpermute_b32 v17, v24, v11
	s_waitcnt lgkmcnt(3)
	ds_bpermute_b32 v18, v24, v12
	s_waitcnt lgkmcnt(3)
	ds_bpermute_b32 v19, v24, v9
	s_waitcnt lgkmcnt(3)
	ds_bpermute_b32 v20, v24, v10
	s_waitcnt lgkmcnt(2)
	v_add_f64 v[11:12], v[11:12], v[17:18]
	s_waitcnt lgkmcnt(0)
	v_add_f64 v[17:18], v[9:10], v[19:20]
	ds_bpermute_b32 v9, v25, v11
	ds_bpermute_b32 v10, v25, v12
	;; [unrolled: 1-line block ×4, first 2 shown]
	s_waitcnt lgkmcnt(2)
	v_add_f64 v[9:10], v[11:12], v[9:10]
	s_waitcnt lgkmcnt(0)
	v_add_f64 v[11:12], v[17:18], v[19:20]
	ds_bpermute_b32 v17, v26, v9
	ds_bpermute_b32 v18, v26, v10
	;; [unrolled: 1-line block ×4, first 2 shown]
	s_and_saveexec_b32 s2, s1
	s_cbranch_execz .LBB9_7
; %bb.20:                               ;   in Loop: Header=BB9_8 Depth=1
	s_waitcnt lgkmcnt(0)
	v_add_f64 v[11:12], v[11:12], v[19:20]
	v_add_f64 v[17:18], v[9:10], v[17:18]
	v_mul_f64 v[9:10], v[11:12], -v[3:4]
	v_mul_f64 v[11:12], v[1:2], v[11:12]
	v_fma_f64 v[9:10], v[1:2], v[17:18], v[9:10]
	v_fma_f64 v[11:12], v[3:4], v[17:18], v[11:12]
	v_add_nc_u32_e32 v17, s6, v13
	v_ashrrev_i32_e32 v18, 31, v17
	s_and_saveexec_b32 s3, s23
	s_xor_b32 s3, exec_lo, s3
	s_cbranch_execz .LBB9_22
; %bb.21:                               ;   in Loop: Header=BB9_8 Depth=1
	v_lshlrev_b64 v[17:18], 4, v[17:18]
	v_add_co_u32 v17, vcc_lo, s8, v17
	v_add_co_ci_u32_e64 v18, null, s9, v18, vcc_lo
	global_store_dwordx4 v[17:18], v[9:12], off
                                        ; implicit-def: $vgpr17
                                        ; implicit-def: $vgpr9_vgpr10
.LBB9_22:                               ;   in Loop: Header=BB9_8 Depth=1
	s_andn2_saveexec_b32 s3, s3
	s_cbranch_execz .LBB9_7
; %bb.23:                               ;   in Loop: Header=BB9_8 Depth=1
	v_lshlrev_b64 v[17:18], 4, v[17:18]
	v_add_co_u32 v21, vcc_lo, s8, v17
	v_add_co_ci_u32_e64 v22, null, s9, v18, vcc_lo
	global_load_dwordx4 v[17:20], v[21:22], off
	s_waitcnt vmcnt(0)
	v_fma_f64 v[9:10], v[5:6], v[17:18], v[9:10]
	v_fma_f64 v[11:12], v[7:8], v[17:18], v[11:12]
	v_fma_f64 v[9:10], -v[7:8], v[19:20], v[9:10]
	v_fma_f64 v[11:12], v[5:6], v[19:20], v[11:12]
	global_store_dwordx4 v[21:22], v[9:12], off
	s_branch .LBB9_7
.LBB9_24:
	s_endpgm
	.section	.rodata,"a",@progbits
	.p2align	6, 0x0
	.amdhsa_kernel _ZN9rocsparseL22bsrxmvn_general_kernelILj64ELj8E21rocsparse_complex_numIdEiiS2_S2_S2_EEv20rocsparse_direction_NS_24const_host_device_scalarIT1_EET3_PKS7_PKT2_SC_S9_PKT4_S7_PKT5_S6_PT6_21rocsparse_index_base_b
		.amdhsa_group_segment_fixed_size 0
		.amdhsa_private_segment_fixed_size 0
		.amdhsa_kernarg_size 120
		.amdhsa_user_sgpr_count 6
		.amdhsa_user_sgpr_private_segment_buffer 1
		.amdhsa_user_sgpr_dispatch_ptr 0
		.amdhsa_user_sgpr_queue_ptr 0
		.amdhsa_user_sgpr_kernarg_segment_ptr 1
		.amdhsa_user_sgpr_dispatch_id 0
		.amdhsa_user_sgpr_flat_scratch_init 0
		.amdhsa_user_sgpr_private_segment_size 0
		.amdhsa_wavefront_size32 1
		.amdhsa_uses_dynamic_stack 0
		.amdhsa_system_sgpr_private_segment_wavefront_offset 0
		.amdhsa_system_sgpr_workgroup_id_x 1
		.amdhsa_system_sgpr_workgroup_id_y 0
		.amdhsa_system_sgpr_workgroup_id_z 0
		.amdhsa_system_sgpr_workgroup_info 0
		.amdhsa_system_vgpr_workitem_id 0
		.amdhsa_next_free_vgpr 38
		.amdhsa_next_free_sgpr 30
		.amdhsa_reserve_vcc 1
		.amdhsa_reserve_flat_scratch 0
		.amdhsa_float_round_mode_32 0
		.amdhsa_float_round_mode_16_64 0
		.amdhsa_float_denorm_mode_32 3
		.amdhsa_float_denorm_mode_16_64 3
		.amdhsa_dx10_clamp 1
		.amdhsa_ieee_mode 1
		.amdhsa_fp16_overflow 0
		.amdhsa_workgroup_processor_mode 1
		.amdhsa_memory_ordered 1
		.amdhsa_forward_progress 1
		.amdhsa_shared_vgpr_count 0
		.amdhsa_exception_fp_ieee_invalid_op 0
		.amdhsa_exception_fp_denorm_src 0
		.amdhsa_exception_fp_ieee_div_zero 0
		.amdhsa_exception_fp_ieee_overflow 0
		.amdhsa_exception_fp_ieee_underflow 0
		.amdhsa_exception_fp_ieee_inexact 0
		.amdhsa_exception_int_div_zero 0
	.end_amdhsa_kernel
	.section	.text._ZN9rocsparseL22bsrxmvn_general_kernelILj64ELj8E21rocsparse_complex_numIdEiiS2_S2_S2_EEv20rocsparse_direction_NS_24const_host_device_scalarIT1_EET3_PKS7_PKT2_SC_S9_PKT4_S7_PKT5_S6_PT6_21rocsparse_index_base_b,"axG",@progbits,_ZN9rocsparseL22bsrxmvn_general_kernelILj64ELj8E21rocsparse_complex_numIdEiiS2_S2_S2_EEv20rocsparse_direction_NS_24const_host_device_scalarIT1_EET3_PKS7_PKT2_SC_S9_PKT4_S7_PKT5_S6_PT6_21rocsparse_index_base_b,comdat
.Lfunc_end9:
	.size	_ZN9rocsparseL22bsrxmvn_general_kernelILj64ELj8E21rocsparse_complex_numIdEiiS2_S2_S2_EEv20rocsparse_direction_NS_24const_host_device_scalarIT1_EET3_PKS7_PKT2_SC_S9_PKT4_S7_PKT5_S6_PT6_21rocsparse_index_base_b, .Lfunc_end9-_ZN9rocsparseL22bsrxmvn_general_kernelILj64ELj8E21rocsparse_complex_numIdEiiS2_S2_S2_EEv20rocsparse_direction_NS_24const_host_device_scalarIT1_EET3_PKS7_PKT2_SC_S9_PKT4_S7_PKT5_S6_PT6_21rocsparse_index_base_b
                                        ; -- End function
	.set _ZN9rocsparseL22bsrxmvn_general_kernelILj64ELj8E21rocsparse_complex_numIdEiiS2_S2_S2_EEv20rocsparse_direction_NS_24const_host_device_scalarIT1_EET3_PKS7_PKT2_SC_S9_PKT4_S7_PKT5_S6_PT6_21rocsparse_index_base_b.num_vgpr, 38
	.set _ZN9rocsparseL22bsrxmvn_general_kernelILj64ELj8E21rocsparse_complex_numIdEiiS2_S2_S2_EEv20rocsparse_direction_NS_24const_host_device_scalarIT1_EET3_PKS7_PKT2_SC_S9_PKT4_S7_PKT5_S6_PT6_21rocsparse_index_base_b.num_agpr, 0
	.set _ZN9rocsparseL22bsrxmvn_general_kernelILj64ELj8E21rocsparse_complex_numIdEiiS2_S2_S2_EEv20rocsparse_direction_NS_24const_host_device_scalarIT1_EET3_PKS7_PKT2_SC_S9_PKT4_S7_PKT5_S6_PT6_21rocsparse_index_base_b.numbered_sgpr, 30
	.set _ZN9rocsparseL22bsrxmvn_general_kernelILj64ELj8E21rocsparse_complex_numIdEiiS2_S2_S2_EEv20rocsparse_direction_NS_24const_host_device_scalarIT1_EET3_PKS7_PKT2_SC_S9_PKT4_S7_PKT5_S6_PT6_21rocsparse_index_base_b.num_named_barrier, 0
	.set _ZN9rocsparseL22bsrxmvn_general_kernelILj64ELj8E21rocsparse_complex_numIdEiiS2_S2_S2_EEv20rocsparse_direction_NS_24const_host_device_scalarIT1_EET3_PKS7_PKT2_SC_S9_PKT4_S7_PKT5_S6_PT6_21rocsparse_index_base_b.private_seg_size, 0
	.set _ZN9rocsparseL22bsrxmvn_general_kernelILj64ELj8E21rocsparse_complex_numIdEiiS2_S2_S2_EEv20rocsparse_direction_NS_24const_host_device_scalarIT1_EET3_PKS7_PKT2_SC_S9_PKT4_S7_PKT5_S6_PT6_21rocsparse_index_base_b.uses_vcc, 1
	.set _ZN9rocsparseL22bsrxmvn_general_kernelILj64ELj8E21rocsparse_complex_numIdEiiS2_S2_S2_EEv20rocsparse_direction_NS_24const_host_device_scalarIT1_EET3_PKS7_PKT2_SC_S9_PKT4_S7_PKT5_S6_PT6_21rocsparse_index_base_b.uses_flat_scratch, 0
	.set _ZN9rocsparseL22bsrxmvn_general_kernelILj64ELj8E21rocsparse_complex_numIdEiiS2_S2_S2_EEv20rocsparse_direction_NS_24const_host_device_scalarIT1_EET3_PKS7_PKT2_SC_S9_PKT4_S7_PKT5_S6_PT6_21rocsparse_index_base_b.has_dyn_sized_stack, 0
	.set _ZN9rocsparseL22bsrxmvn_general_kernelILj64ELj8E21rocsparse_complex_numIdEiiS2_S2_S2_EEv20rocsparse_direction_NS_24const_host_device_scalarIT1_EET3_PKS7_PKT2_SC_S9_PKT4_S7_PKT5_S6_PT6_21rocsparse_index_base_b.has_recursion, 0
	.set _ZN9rocsparseL22bsrxmvn_general_kernelILj64ELj8E21rocsparse_complex_numIdEiiS2_S2_S2_EEv20rocsparse_direction_NS_24const_host_device_scalarIT1_EET3_PKS7_PKT2_SC_S9_PKT4_S7_PKT5_S6_PT6_21rocsparse_index_base_b.has_indirect_call, 0
	.section	.AMDGPU.csdata,"",@progbits
; Kernel info:
; codeLenInByte = 1376
; TotalNumSgprs: 32
; NumVgprs: 38
; ScratchSize: 0
; MemoryBound: 0
; FloatMode: 240
; IeeeMode: 1
; LDSByteSize: 0 bytes/workgroup (compile time only)
; SGPRBlocks: 0
; VGPRBlocks: 4
; NumSGPRsForWavesPerEU: 32
; NumVGPRsForWavesPerEU: 38
; Occupancy: 16
; WaveLimiterHint : 1
; COMPUTE_PGM_RSRC2:SCRATCH_EN: 0
; COMPUTE_PGM_RSRC2:USER_SGPR: 6
; COMPUTE_PGM_RSRC2:TRAP_HANDLER: 0
; COMPUTE_PGM_RSRC2:TGID_X_EN: 1
; COMPUTE_PGM_RSRC2:TGID_Y_EN: 0
; COMPUTE_PGM_RSRC2:TGID_Z_EN: 0
; COMPUTE_PGM_RSRC2:TIDIG_COMP_CNT: 0
	.section	.text._ZN9rocsparseL22bsrxmvn_general_kernelILj256ELj16E21rocsparse_complex_numIdEiiS2_S2_S2_EEv20rocsparse_direction_NS_24const_host_device_scalarIT1_EET3_PKS7_PKT2_SC_S9_PKT4_S7_PKT5_S6_PT6_21rocsparse_index_base_b,"axG",@progbits,_ZN9rocsparseL22bsrxmvn_general_kernelILj256ELj16E21rocsparse_complex_numIdEiiS2_S2_S2_EEv20rocsparse_direction_NS_24const_host_device_scalarIT1_EET3_PKS7_PKT2_SC_S9_PKT4_S7_PKT5_S6_PT6_21rocsparse_index_base_b,comdat
	.globl	_ZN9rocsparseL22bsrxmvn_general_kernelILj256ELj16E21rocsparse_complex_numIdEiiS2_S2_S2_EEv20rocsparse_direction_NS_24const_host_device_scalarIT1_EET3_PKS7_PKT2_SC_S9_PKT4_S7_PKT5_S6_PT6_21rocsparse_index_base_b ; -- Begin function _ZN9rocsparseL22bsrxmvn_general_kernelILj256ELj16E21rocsparse_complex_numIdEiiS2_S2_S2_EEv20rocsparse_direction_NS_24const_host_device_scalarIT1_EET3_PKS7_PKT2_SC_S9_PKT4_S7_PKT5_S6_PT6_21rocsparse_index_base_b
	.p2align	8
	.type	_ZN9rocsparseL22bsrxmvn_general_kernelILj256ELj16E21rocsparse_complex_numIdEiiS2_S2_S2_EEv20rocsparse_direction_NS_24const_host_device_scalarIT1_EET3_PKS7_PKT2_SC_S9_PKT4_S7_PKT5_S6_PT6_21rocsparse_index_base_b,@function
_ZN9rocsparseL22bsrxmvn_general_kernelILj256ELj16E21rocsparse_complex_numIdEiiS2_S2_S2_EEv20rocsparse_direction_NS_24const_host_device_scalarIT1_EET3_PKS7_PKT2_SC_S9_PKT4_S7_PKT5_S6_PT6_21rocsparse_index_base_b: ; @_ZN9rocsparseL22bsrxmvn_general_kernelILj256ELj16E21rocsparse_complex_numIdEiiS2_S2_S2_EEv20rocsparse_direction_NS_24const_host_device_scalarIT1_EET3_PKS7_PKT2_SC_S9_PKT4_S7_PKT5_S6_PT6_21rocsparse_index_base_b
; %bb.0:
	s_clause 0x1
	s_load_dwordx2 s[16:17], s[4:5], 0x70
	s_load_dwordx2 s[0:1], s[4:5], 0x8
	s_add_u32 s7, s4, 8
	s_addc_u32 s8, s5, 0
	s_add_u32 s9, s4, 0x58
	s_addc_u32 s10, s5, 0
	s_load_dwordx2 s[2:3], s[4:5], 0x58
	s_waitcnt lgkmcnt(0)
	s_bitcmp1_b32 s17, 0
	s_cselect_b32 s0, s7, s0
	s_cselect_b32 s1, s8, s1
	v_mov_b32_e32 v1, s0
	v_mov_b32_e32 v2, s1
	s_cselect_b32 s0, s9, s2
	s_cselect_b32 s1, s10, s3
	v_mov_b32_e32 v5, s0
	v_mov_b32_e32 v6, s1
	flat_load_dwordx4 v[1:4], v[1:2]
	flat_load_dwordx4 v[5:8], v[5:6]
	s_waitcnt vmcnt(1) lgkmcnt(1)
	v_cmp_eq_f64_e32 vcc_lo, 0, v[1:2]
	v_cmp_eq_f64_e64 s0, 0, v[3:4]
	s_and_b32 s2, vcc_lo, s0
	s_mov_b32 s0, -1
	s_and_saveexec_b32 s1, s2
	s_cbranch_execz .LBB10_2
; %bb.1:
	s_waitcnt vmcnt(0) lgkmcnt(0)
	v_cmp_neq_f64_e32 vcc_lo, 1.0, v[5:6]
	v_cmp_neq_f64_e64 s0, 0, v[7:8]
	s_or_b32 s0, vcc_lo, s0
	s_orn2_b32 s0, s0, exec_lo
.LBB10_2:
	s_or_b32 exec_lo, exec_lo, s1
	s_and_saveexec_b32 s1, s0
	s_cbranch_execz .LBB10_24
; %bb.3:
	s_load_dwordx2 s[0:1], s[4:5], 0x20
	s_waitcnt lgkmcnt(0)
	s_cmp_eq_u64 s[0:1], 0
	s_cbranch_scc1 .LBB10_5
; %bb.4:
	s_ashr_i32 s7, s6, 31
	s_lshl_b64 s[2:3], s[6:7], 2
	s_add_u32 s0, s0, s2
	s_addc_u32 s1, s1, s3
	s_load_dword s0, s[0:1], 0x0
	s_waitcnt lgkmcnt(0)
	s_sub_i32 s6, s0, s16
.LBB10_5:
	s_load_dword s17, s[4:5], 0x48
	v_lshrrev_b32_e32 v13, 4, v0
	s_waitcnt lgkmcnt(0)
	v_cmp_gt_i32_e32 vcc_lo, s17, v13
	s_and_b32 exec_lo, exec_lo, vcc_lo
	s_cbranch_execz .LBB10_24
; %bb.6:
	s_load_dwordx8 s[8:15], s[4:5], 0x28
	s_ashr_i32 s7, s6, 31
	v_mbcnt_lo_u32_b32 v9, -1, 0
	s_lshl_b64 s[22:23], s[6:7], 2
	s_load_dword s26, s[4:5], 0x0
	s_waitcnt vmcnt(0)
	v_cmp_eq_f64_e32 vcc_lo, 0, v[5:6]
	v_cmp_eq_f64_e64 s2, 0, v[7:8]
	v_xor_b32_e32 v10, 8, v9
	v_xor_b32_e32 v11, 4, v9
	;; [unrolled: 1-line block ×4, first 2 shown]
	v_and_b32_e32 v15, 15, v0
	v_mov_b32_e32 v14, 0
	s_mul_i32 s7, s17, s17
	v_mul_lo_u32 v0, s17, v13
	s_mul_i32 s6, s6, s17
	v_mul_lo_u32 v23, s17, v15
	v_cmp_gt_u32_e64 s0, s17, v15
	v_mov_b32_e32 v16, v14
	s_waitcnt lgkmcnt(0)
	s_add_u32 s24, s8, s22
	s_addc_u32 s25, s9, s23
	s_load_dword s21, s[24:25], 0x0
	s_clause 0x1
	s_load_dwordx2 s[8:9], s[4:5], 0x68
	s_load_dwordx2 s[18:19], s[4:5], 0x50
	s_mul_hi_u32 s5, s17, s17
	s_mov_b32 s4, 0
	s_waitcnt lgkmcnt(0)
	s_sub_i32 s20, s21, s16
	s_add_u32 s1, s24, 4
	s_addc_u32 s3, s25, 0
	s_add_u32 s22, s10, s22
	s_addc_u32 s23, s11, s23
	s_cmp_eq_u64 s[10:11], 0
	s_cselect_b32 s11, s3, s23
	s_cselect_b32 s10, s1, s22
	v_cmp_gt_i32_e64 s3, 32, v10
	s_load_dword s11, s[10:11], 0x0
	s_mul_hi_u32 s23, s20, s7
	v_cmp_eq_u32_e64 s1, 15, v15
	v_cndmask_b32_e64 v10, v9, v10, s3
	v_cmp_gt_i32_e64 s3, 32, v11
	v_lshlrev_b32_e32 v24, 2, v10
	v_cndmask_b32_e64 v11, v9, v11, s3
	v_cmp_gt_i32_e64 s3, 32, v12
	v_lshlrev_b32_e32 v25, 2, v11
	v_cndmask_b32_e64 v12, v9, v12, s3
	v_cmp_gt_i32_e64 s3, 32, v17
	s_waitcnt lgkmcnt(0)
	s_sub_i32 s10, s11, s16
	s_cmp_lt_i32 s21, s11
	v_cndmask_b32_e64 v9, v9, v17, s3
	s_cselect_b32 s21, -1, 0
	s_cmp_lg_u32 s26, 0
	s_mul_i32 s3, s20, s5
	s_cselect_b32 s22, -1, 0
	s_ashr_i32 s24, s20, 31
	v_lshlrev_b32_e32 v26, 2, v12
	v_lshlrev_b32_e32 v27, 2, v9
	s_add_i32 s3, s23, s3
	s_mul_i32 s24, s24, s7
	s_mul_i32 s11, s20, s7
	s_and_b32 s23, vcc_lo, s2
	s_add_i32 s24, s3, s24
	s_lshl_b32 s25, s17, 4
	s_branch .LBB10_8
.LBB10_7:                               ;   in Loop: Header=BB10_8 Depth=1
	s_or_b32 exec_lo, exec_lo, s2
	v_add_nc_u32_e32 v13, 16, v13
	v_add_nc_u32_e32 v0, s25, v0
	v_cmp_le_i32_e32 vcc_lo, s17, v13
	s_or_b32 s4, vcc_lo, s4
	s_andn2_b32 exec_lo, exec_lo, s4
	s_cbranch_execz .LBB10_24
.LBB10_8:                               ; =>This Loop Header: Depth=1
                                        ;     Child Loop BB10_12 Depth 2
                                        ;       Child Loop BB10_15 Depth 3
	v_mov_b32_e32 v9, 0
	v_mov_b32_e32 v11, 0
	;; [unrolled: 1-line block ×4, first 2 shown]
	s_andn2_b32 vcc_lo, exec_lo, s21
	s_cbranch_vccnz .LBB10_19
; %bb.9:                                ;   in Loop: Header=BB10_8 Depth=1
	s_waitcnt lgkmcnt(3)
	v_ashrrev_i32_e32 v17, 31, v0
	v_add_co_u32 v28, vcc_lo, s11, v0
	v_mov_b32_e32 v9, 0
	v_mov_b32_e32 v11, 0
	;; [unrolled: 1-line block ×4, first 2 shown]
	v_add_co_ci_u32_e64 v29, null, s24, v17, vcc_lo
	s_mov_b32 s2, s20
	s_branch .LBB10_12
.LBB10_10:                              ;   in Loop: Header=BB10_12 Depth=2
	s_or_b32 exec_lo, exec_lo, s3
.LBB10_11:                              ;   in Loop: Header=BB10_12 Depth=2
	s_or_b32 exec_lo, exec_lo, s26
	v_add_co_u32 v28, vcc_lo, v28, s7
	v_add_co_ci_u32_e64 v29, null, s5, v29, vcc_lo
	s_add_i32 s2, s2, 1
	s_cmp_ge_i32 s2, s10
	s_cbranch_scc1 .LBB10_19
.LBB10_12:                              ;   Parent Loop BB10_8 Depth=1
                                        ; =>  This Loop Header: Depth=2
                                        ;       Child Loop BB10_15 Depth 3
	s_and_saveexec_b32 s26, s0
	s_cbranch_execz .LBB10_11
; %bb.13:                               ;   in Loop: Header=BB10_12 Depth=2
	s_ashr_i32 s3, s2, 31
	s_waitcnt lgkmcnt(2)
	v_mad_u64_u32 v[17:18], null, s7, s2, v[13:14]
	s_lshl_b64 s[28:29], s[2:3], 2
	s_mul_i32 s3, s7, s3
	s_add_u32 s28, s12, s28
	s_addc_u32 s29, s13, s29
	s_waitcnt lgkmcnt(0)
	v_mov_b32_e32 v20, v16
	s_load_dword s27, s[28:29], 0x0
	s_mul_i32 s28, s5, s2
	v_mov_b32_e32 v30, v23
	v_mov_b32_e32 v19, v15
	v_add3_u32 v18, s3, s28, v18
	s_waitcnt lgkmcnt(0)
	s_sub_i32 s3, s27, s16
	s_mul_i32 s27, s3, s17
	s_mov_b32 s3, 0
	s_branch .LBB10_15
.LBB10_14:                              ;   in Loop: Header=BB10_15 Depth=3
	v_add_nc_u32_e32 v31, s27, v19
	v_lshlrev_b64 v[21:22], 4, v[21:22]
	v_add_nc_u32_e32 v30, s25, v30
	v_ashrrev_i32_e32 v32, 31, v31
	v_add_co_u32 v21, vcc_lo, s14, v21
	v_add_co_ci_u32_e64 v22, null, s15, v22, vcc_lo
	v_lshlrev_b64 v[31:32], 4, v[31:32]
	v_add_co_u32 v35, vcc_lo, s18, v31
	v_add_co_ci_u32_e64 v36, null, s19, v32, vcc_lo
	v_add_co_u32 v19, vcc_lo, v19, 16
	global_load_dwordx4 v[31:34], v[21:22], off
	global_load_dwordx4 v[35:38], v[35:36], off
	v_add_co_ci_u32_e64 v20, null, 0, v20, vcc_lo
	v_cmp_le_i32_e32 vcc_lo, s17, v19
	s_or_b32 s3, vcc_lo, s3
	s_waitcnt vmcnt(0)
	v_fma_f64 v[11:12], v[31:32], v[35:36], v[11:12]
	v_fma_f64 v[9:10], v[33:34], v[35:36], v[9:10]
	v_fma_f64 v[11:12], -v[33:34], v[37:38], v[11:12]
	v_fma_f64 v[9:10], v[31:32], v[37:38], v[9:10]
	s_andn2_b32 exec_lo, exec_lo, s3
	s_cbranch_execz .LBB10_10
.LBB10_15:                              ;   Parent Loop BB10_8 Depth=1
                                        ;     Parent Loop BB10_12 Depth=2
                                        ; =>    This Inner Loop Header: Depth=3
	s_and_b32 vcc_lo, exec_lo, s22
	s_cbranch_vccz .LBB10_17
; %bb.16:                               ;   in Loop: Header=BB10_15 Depth=3
	v_ashrrev_i32_e32 v22, 31, v30
	v_add_co_u32 v21, vcc_lo, v17, v30
	v_add_co_ci_u32_e64 v22, null, v18, v22, vcc_lo
	s_cbranch_execnz .LBB10_14
	s_branch .LBB10_18
.LBB10_17:                              ;   in Loop: Header=BB10_15 Depth=3
                                        ; implicit-def: $vgpr21_vgpr22
.LBB10_18:                              ;   in Loop: Header=BB10_15 Depth=3
	v_add_co_u32 v21, vcc_lo, v28, v19
	v_add_co_ci_u32_e64 v22, null, v29, v20, vcc_lo
	s_branch .LBB10_14
.LBB10_19:                              ;   in Loop: Header=BB10_8 Depth=1
	s_waitcnt lgkmcnt(3)
	ds_bpermute_b32 v17, v24, v11
	s_waitcnt lgkmcnt(3)
	ds_bpermute_b32 v18, v24, v12
	s_waitcnt lgkmcnt(3)
	ds_bpermute_b32 v19, v24, v9
	s_waitcnt lgkmcnt(3)
	ds_bpermute_b32 v20, v24, v10
	s_waitcnt lgkmcnt(2)
	v_add_f64 v[11:12], v[11:12], v[17:18]
	s_waitcnt lgkmcnt(0)
	v_add_f64 v[9:10], v[9:10], v[19:20]
	ds_bpermute_b32 v17, v25, v11
	ds_bpermute_b32 v18, v25, v12
	ds_bpermute_b32 v19, v25, v9
	ds_bpermute_b32 v20, v25, v10
	s_waitcnt lgkmcnt(2)
	v_add_f64 v[11:12], v[11:12], v[17:18]
	s_waitcnt lgkmcnt(0)
	v_add_f64 v[17:18], v[9:10], v[19:20]
	ds_bpermute_b32 v9, v26, v11
	ds_bpermute_b32 v10, v26, v12
	ds_bpermute_b32 v19, v26, v17
	ds_bpermute_b32 v20, v26, v18
	;; [unrolled: 8-line block ×3, first 2 shown]
	s_and_saveexec_b32 s2, s1
	s_cbranch_execz .LBB10_7
; %bb.20:                               ;   in Loop: Header=BB10_8 Depth=1
	s_waitcnt lgkmcnt(0)
	v_add_f64 v[11:12], v[11:12], v[19:20]
	v_add_f64 v[17:18], v[9:10], v[17:18]
	v_mul_f64 v[9:10], v[11:12], -v[3:4]
	v_mul_f64 v[11:12], v[1:2], v[11:12]
	v_fma_f64 v[9:10], v[1:2], v[17:18], v[9:10]
	v_fma_f64 v[11:12], v[3:4], v[17:18], v[11:12]
	v_add_nc_u32_e32 v17, s6, v13
	v_ashrrev_i32_e32 v18, 31, v17
	s_and_saveexec_b32 s3, s23
	s_xor_b32 s3, exec_lo, s3
	s_cbranch_execz .LBB10_22
; %bb.21:                               ;   in Loop: Header=BB10_8 Depth=1
	v_lshlrev_b64 v[17:18], 4, v[17:18]
	v_add_co_u32 v17, vcc_lo, s8, v17
	v_add_co_ci_u32_e64 v18, null, s9, v18, vcc_lo
	global_store_dwordx4 v[17:18], v[9:12], off
                                        ; implicit-def: $vgpr17
                                        ; implicit-def: $vgpr9_vgpr10
.LBB10_22:                              ;   in Loop: Header=BB10_8 Depth=1
	s_andn2_saveexec_b32 s3, s3
	s_cbranch_execz .LBB10_7
; %bb.23:                               ;   in Loop: Header=BB10_8 Depth=1
	v_lshlrev_b64 v[17:18], 4, v[17:18]
	v_add_co_u32 v21, vcc_lo, s8, v17
	v_add_co_ci_u32_e64 v22, null, s9, v18, vcc_lo
	global_load_dwordx4 v[17:20], v[21:22], off
	s_waitcnt vmcnt(0)
	v_fma_f64 v[9:10], v[5:6], v[17:18], v[9:10]
	v_fma_f64 v[11:12], v[7:8], v[17:18], v[11:12]
	v_fma_f64 v[9:10], -v[7:8], v[19:20], v[9:10]
	v_fma_f64 v[11:12], v[5:6], v[19:20], v[11:12]
	global_store_dwordx4 v[21:22], v[9:12], off
	s_branch .LBB10_7
.LBB10_24:
	s_endpgm
	.section	.rodata,"a",@progbits
	.p2align	6, 0x0
	.amdhsa_kernel _ZN9rocsparseL22bsrxmvn_general_kernelILj256ELj16E21rocsparse_complex_numIdEiiS2_S2_S2_EEv20rocsparse_direction_NS_24const_host_device_scalarIT1_EET3_PKS7_PKT2_SC_S9_PKT4_S7_PKT5_S6_PT6_21rocsparse_index_base_b
		.amdhsa_group_segment_fixed_size 0
		.amdhsa_private_segment_fixed_size 0
		.amdhsa_kernarg_size 120
		.amdhsa_user_sgpr_count 6
		.amdhsa_user_sgpr_private_segment_buffer 1
		.amdhsa_user_sgpr_dispatch_ptr 0
		.amdhsa_user_sgpr_queue_ptr 0
		.amdhsa_user_sgpr_kernarg_segment_ptr 1
		.amdhsa_user_sgpr_dispatch_id 0
		.amdhsa_user_sgpr_flat_scratch_init 0
		.amdhsa_user_sgpr_private_segment_size 0
		.amdhsa_wavefront_size32 1
		.amdhsa_uses_dynamic_stack 0
		.amdhsa_system_sgpr_private_segment_wavefront_offset 0
		.amdhsa_system_sgpr_workgroup_id_x 1
		.amdhsa_system_sgpr_workgroup_id_y 0
		.amdhsa_system_sgpr_workgroup_id_z 0
		.amdhsa_system_sgpr_workgroup_info 0
		.amdhsa_system_vgpr_workitem_id 0
		.amdhsa_next_free_vgpr 39
		.amdhsa_next_free_sgpr 30
		.amdhsa_reserve_vcc 1
		.amdhsa_reserve_flat_scratch 0
		.amdhsa_float_round_mode_32 0
		.amdhsa_float_round_mode_16_64 0
		.amdhsa_float_denorm_mode_32 3
		.amdhsa_float_denorm_mode_16_64 3
		.amdhsa_dx10_clamp 1
		.amdhsa_ieee_mode 1
		.amdhsa_fp16_overflow 0
		.amdhsa_workgroup_processor_mode 1
		.amdhsa_memory_ordered 1
		.amdhsa_forward_progress 1
		.amdhsa_shared_vgpr_count 0
		.amdhsa_exception_fp_ieee_invalid_op 0
		.amdhsa_exception_fp_denorm_src 0
		.amdhsa_exception_fp_ieee_div_zero 0
		.amdhsa_exception_fp_ieee_overflow 0
		.amdhsa_exception_fp_ieee_underflow 0
		.amdhsa_exception_fp_ieee_inexact 0
		.amdhsa_exception_int_div_zero 0
	.end_amdhsa_kernel
	.section	.text._ZN9rocsparseL22bsrxmvn_general_kernelILj256ELj16E21rocsparse_complex_numIdEiiS2_S2_S2_EEv20rocsparse_direction_NS_24const_host_device_scalarIT1_EET3_PKS7_PKT2_SC_S9_PKT4_S7_PKT5_S6_PT6_21rocsparse_index_base_b,"axG",@progbits,_ZN9rocsparseL22bsrxmvn_general_kernelILj256ELj16E21rocsparse_complex_numIdEiiS2_S2_S2_EEv20rocsparse_direction_NS_24const_host_device_scalarIT1_EET3_PKS7_PKT2_SC_S9_PKT4_S7_PKT5_S6_PT6_21rocsparse_index_base_b,comdat
.Lfunc_end10:
	.size	_ZN9rocsparseL22bsrxmvn_general_kernelILj256ELj16E21rocsparse_complex_numIdEiiS2_S2_S2_EEv20rocsparse_direction_NS_24const_host_device_scalarIT1_EET3_PKS7_PKT2_SC_S9_PKT4_S7_PKT5_S6_PT6_21rocsparse_index_base_b, .Lfunc_end10-_ZN9rocsparseL22bsrxmvn_general_kernelILj256ELj16E21rocsparse_complex_numIdEiiS2_S2_S2_EEv20rocsparse_direction_NS_24const_host_device_scalarIT1_EET3_PKS7_PKT2_SC_S9_PKT4_S7_PKT5_S6_PT6_21rocsparse_index_base_b
                                        ; -- End function
	.set _ZN9rocsparseL22bsrxmvn_general_kernelILj256ELj16E21rocsparse_complex_numIdEiiS2_S2_S2_EEv20rocsparse_direction_NS_24const_host_device_scalarIT1_EET3_PKS7_PKT2_SC_S9_PKT4_S7_PKT5_S6_PT6_21rocsparse_index_base_b.num_vgpr, 39
	.set _ZN9rocsparseL22bsrxmvn_general_kernelILj256ELj16E21rocsparse_complex_numIdEiiS2_S2_S2_EEv20rocsparse_direction_NS_24const_host_device_scalarIT1_EET3_PKS7_PKT2_SC_S9_PKT4_S7_PKT5_S6_PT6_21rocsparse_index_base_b.num_agpr, 0
	.set _ZN9rocsparseL22bsrxmvn_general_kernelILj256ELj16E21rocsparse_complex_numIdEiiS2_S2_S2_EEv20rocsparse_direction_NS_24const_host_device_scalarIT1_EET3_PKS7_PKT2_SC_S9_PKT4_S7_PKT5_S6_PT6_21rocsparse_index_base_b.numbered_sgpr, 30
	.set _ZN9rocsparseL22bsrxmvn_general_kernelILj256ELj16E21rocsparse_complex_numIdEiiS2_S2_S2_EEv20rocsparse_direction_NS_24const_host_device_scalarIT1_EET3_PKS7_PKT2_SC_S9_PKT4_S7_PKT5_S6_PT6_21rocsparse_index_base_b.num_named_barrier, 0
	.set _ZN9rocsparseL22bsrxmvn_general_kernelILj256ELj16E21rocsparse_complex_numIdEiiS2_S2_S2_EEv20rocsparse_direction_NS_24const_host_device_scalarIT1_EET3_PKS7_PKT2_SC_S9_PKT4_S7_PKT5_S6_PT6_21rocsparse_index_base_b.private_seg_size, 0
	.set _ZN9rocsparseL22bsrxmvn_general_kernelILj256ELj16E21rocsparse_complex_numIdEiiS2_S2_S2_EEv20rocsparse_direction_NS_24const_host_device_scalarIT1_EET3_PKS7_PKT2_SC_S9_PKT4_S7_PKT5_S6_PT6_21rocsparse_index_base_b.uses_vcc, 1
	.set _ZN9rocsparseL22bsrxmvn_general_kernelILj256ELj16E21rocsparse_complex_numIdEiiS2_S2_S2_EEv20rocsparse_direction_NS_24const_host_device_scalarIT1_EET3_PKS7_PKT2_SC_S9_PKT4_S7_PKT5_S6_PT6_21rocsparse_index_base_b.uses_flat_scratch, 0
	.set _ZN9rocsparseL22bsrxmvn_general_kernelILj256ELj16E21rocsparse_complex_numIdEiiS2_S2_S2_EEv20rocsparse_direction_NS_24const_host_device_scalarIT1_EET3_PKS7_PKT2_SC_S9_PKT4_S7_PKT5_S6_PT6_21rocsparse_index_base_b.has_dyn_sized_stack, 0
	.set _ZN9rocsparseL22bsrxmvn_general_kernelILj256ELj16E21rocsparse_complex_numIdEiiS2_S2_S2_EEv20rocsparse_direction_NS_24const_host_device_scalarIT1_EET3_PKS7_PKT2_SC_S9_PKT4_S7_PKT5_S6_PT6_21rocsparse_index_base_b.has_recursion, 0
	.set _ZN9rocsparseL22bsrxmvn_general_kernelILj256ELj16E21rocsparse_complex_numIdEiiS2_S2_S2_EEv20rocsparse_direction_NS_24const_host_device_scalarIT1_EET3_PKS7_PKT2_SC_S9_PKT4_S7_PKT5_S6_PT6_21rocsparse_index_base_b.has_indirect_call, 0
	.section	.AMDGPU.csdata,"",@progbits
; Kernel info:
; codeLenInByte = 1456
; TotalNumSgprs: 32
; NumVgprs: 39
; ScratchSize: 0
; MemoryBound: 0
; FloatMode: 240
; IeeeMode: 1
; LDSByteSize: 0 bytes/workgroup (compile time only)
; SGPRBlocks: 0
; VGPRBlocks: 4
; NumSGPRsForWavesPerEU: 32
; NumVGPRsForWavesPerEU: 39
; Occupancy: 16
; WaveLimiterHint : 1
; COMPUTE_PGM_RSRC2:SCRATCH_EN: 0
; COMPUTE_PGM_RSRC2:USER_SGPR: 6
; COMPUTE_PGM_RSRC2:TRAP_HANDLER: 0
; COMPUTE_PGM_RSRC2:TGID_X_EN: 1
; COMPUTE_PGM_RSRC2:TGID_Y_EN: 0
; COMPUTE_PGM_RSRC2:TGID_Z_EN: 0
; COMPUTE_PGM_RSRC2:TIDIG_COMP_CNT: 0
	.section	.text._ZN9rocsparseL22bsrxmvn_general_kernelILj1024ELj32E21rocsparse_complex_numIdEiiS2_S2_S2_EEv20rocsparse_direction_NS_24const_host_device_scalarIT1_EET3_PKS7_PKT2_SC_S9_PKT4_S7_PKT5_S6_PT6_21rocsparse_index_base_b,"axG",@progbits,_ZN9rocsparseL22bsrxmvn_general_kernelILj1024ELj32E21rocsparse_complex_numIdEiiS2_S2_S2_EEv20rocsparse_direction_NS_24const_host_device_scalarIT1_EET3_PKS7_PKT2_SC_S9_PKT4_S7_PKT5_S6_PT6_21rocsparse_index_base_b,comdat
	.globl	_ZN9rocsparseL22bsrxmvn_general_kernelILj1024ELj32E21rocsparse_complex_numIdEiiS2_S2_S2_EEv20rocsparse_direction_NS_24const_host_device_scalarIT1_EET3_PKS7_PKT2_SC_S9_PKT4_S7_PKT5_S6_PT6_21rocsparse_index_base_b ; -- Begin function _ZN9rocsparseL22bsrxmvn_general_kernelILj1024ELj32E21rocsparse_complex_numIdEiiS2_S2_S2_EEv20rocsparse_direction_NS_24const_host_device_scalarIT1_EET3_PKS7_PKT2_SC_S9_PKT4_S7_PKT5_S6_PT6_21rocsparse_index_base_b
	.p2align	8
	.type	_ZN9rocsparseL22bsrxmvn_general_kernelILj1024ELj32E21rocsparse_complex_numIdEiiS2_S2_S2_EEv20rocsparse_direction_NS_24const_host_device_scalarIT1_EET3_PKS7_PKT2_SC_S9_PKT4_S7_PKT5_S6_PT6_21rocsparse_index_base_b,@function
_ZN9rocsparseL22bsrxmvn_general_kernelILj1024ELj32E21rocsparse_complex_numIdEiiS2_S2_S2_EEv20rocsparse_direction_NS_24const_host_device_scalarIT1_EET3_PKS7_PKT2_SC_S9_PKT4_S7_PKT5_S6_PT6_21rocsparse_index_base_b: ; @_ZN9rocsparseL22bsrxmvn_general_kernelILj1024ELj32E21rocsparse_complex_numIdEiiS2_S2_S2_EEv20rocsparse_direction_NS_24const_host_device_scalarIT1_EET3_PKS7_PKT2_SC_S9_PKT4_S7_PKT5_S6_PT6_21rocsparse_index_base_b
; %bb.0:
	s_clause 0x1
	s_load_dwordx2 s[16:17], s[4:5], 0x70
	s_load_dwordx2 s[0:1], s[4:5], 0x8
	s_add_u32 s7, s4, 8
	s_addc_u32 s8, s5, 0
	s_add_u32 s9, s4, 0x58
	s_addc_u32 s10, s5, 0
	s_load_dwordx2 s[2:3], s[4:5], 0x58
	s_waitcnt lgkmcnt(0)
	s_bitcmp1_b32 s17, 0
	s_cselect_b32 s0, s7, s0
	s_cselect_b32 s1, s8, s1
	v_mov_b32_e32 v1, s0
	v_mov_b32_e32 v2, s1
	s_cselect_b32 s0, s9, s2
	s_cselect_b32 s1, s10, s3
	v_mov_b32_e32 v5, s0
	v_mov_b32_e32 v6, s1
	flat_load_dwordx4 v[1:4], v[1:2]
	flat_load_dwordx4 v[5:8], v[5:6]
	s_waitcnt vmcnt(1) lgkmcnt(1)
	v_cmp_eq_f64_e32 vcc_lo, 0, v[1:2]
	v_cmp_eq_f64_e64 s0, 0, v[3:4]
	s_and_b32 s2, vcc_lo, s0
	s_mov_b32 s0, -1
	s_and_saveexec_b32 s1, s2
	s_cbranch_execz .LBB11_2
; %bb.1:
	s_waitcnt vmcnt(0) lgkmcnt(0)
	v_cmp_neq_f64_e32 vcc_lo, 1.0, v[5:6]
	v_cmp_neq_f64_e64 s0, 0, v[7:8]
	s_or_b32 s0, vcc_lo, s0
	s_orn2_b32 s0, s0, exec_lo
.LBB11_2:
	s_or_b32 exec_lo, exec_lo, s1
	s_and_saveexec_b32 s1, s0
	s_cbranch_execz .LBB11_24
; %bb.3:
	s_load_dwordx2 s[0:1], s[4:5], 0x20
	s_waitcnt lgkmcnt(0)
	s_cmp_eq_u64 s[0:1], 0
	s_cbranch_scc1 .LBB11_5
; %bb.4:
	s_ashr_i32 s7, s6, 31
	s_lshl_b64 s[2:3], s[6:7], 2
	s_add_u32 s0, s0, s2
	s_addc_u32 s1, s1, s3
	s_load_dword s0, s[0:1], 0x0
	s_waitcnt lgkmcnt(0)
	s_sub_i32 s6, s0, s16
.LBB11_5:
	s_load_dword s17, s[4:5], 0x48
	v_lshrrev_b32_e32 v13, 5, v0
	s_waitcnt lgkmcnt(0)
	v_cmp_gt_i32_e32 vcc_lo, s17, v13
	s_and_b32 exec_lo, exec_lo, vcc_lo
	s_cbranch_execz .LBB11_24
; %bb.6:
	s_load_dwordx8 s[8:15], s[4:5], 0x28
	s_ashr_i32 s7, s6, 31
	v_mbcnt_lo_u32_b32 v9, -1, 0
	s_lshl_b64 s[22:23], s[6:7], 2
	s_load_dword s26, s[4:5], 0x0
	s_waitcnt vmcnt(0)
	v_cmp_eq_f64_e32 vcc_lo, 0, v[5:6]
	v_cmp_eq_f64_e64 s2, 0, v[7:8]
	v_xor_b32_e32 v10, 16, v9
	v_xor_b32_e32 v11, 8, v9
	;; [unrolled: 1-line block ×5, first 2 shown]
	v_and_b32_e32 v15, 31, v0
	v_mov_b32_e32 v14, 0
	s_mul_i32 s7, s17, s17
	v_mul_lo_u32 v0, s17, v13
	s_mul_i32 s6, s6, s17
	v_mul_lo_u32 v23, s17, v15
	v_cmp_gt_u32_e64 s0, s17, v15
	v_mov_b32_e32 v16, v14
	s_waitcnt lgkmcnt(0)
	s_add_u32 s24, s8, s22
	s_addc_u32 s25, s9, s23
	s_load_dword s21, s[24:25], 0x0
	s_clause 0x1
	s_load_dwordx2 s[8:9], s[4:5], 0x68
	s_load_dwordx2 s[18:19], s[4:5], 0x50
	s_mul_hi_u32 s5, s17, s17
	s_mov_b32 s4, 0
	s_waitcnt lgkmcnt(0)
	s_sub_i32 s20, s21, s16
	s_add_u32 s1, s24, 4
	s_addc_u32 s3, s25, 0
	s_add_u32 s22, s10, s22
	s_addc_u32 s23, s11, s23
	s_cmp_eq_u64 s[10:11], 0
	s_cselect_b32 s11, s3, s23
	v_cmp_gt_i32_e64 s3, 32, v10
	s_cselect_b32 s10, s1, s22
	s_mul_hi_u32 s23, s20, s7
	s_load_dword s11, s[10:11], 0x0
	v_cmp_eq_u32_e64 s1, 31, v15
	v_cndmask_b32_e64 v10, v9, v10, s3
	v_cmp_gt_i32_e64 s3, 32, v11
	v_lshlrev_b32_e32 v24, 2, v10
	v_cndmask_b32_e64 v11, v9, v11, s3
	v_cmp_gt_i32_e64 s3, 32, v12
	v_lshlrev_b32_e32 v25, 2, v11
	;; [unrolled: 3-line block ×3, first 2 shown]
	v_cndmask_b32_e64 v17, v9, v17, s3
	v_cmp_gt_i32_e64 s3, 32, v18
	s_waitcnt lgkmcnt(0)
	s_sub_i32 s10, s11, s16
	s_cmp_lt_i32 s21, s11
	s_mul_i32 s11, s20, s7
	s_cselect_b32 s21, -1, 0
	v_cndmask_b32_e64 v9, v9, v18, s3
	s_cmp_lg_u32 s26, 0
	s_mul_i32 s3, s20, s5
	s_cselect_b32 s22, -1, 0
	s_ashr_i32 s24, s20, 31
	v_lshlrev_b32_e32 v27, 2, v17
	v_lshlrev_b32_e32 v28, 2, v9
	s_add_i32 s3, s23, s3
	s_mul_i32 s24, s24, s7
	s_and_b32 s23, vcc_lo, s2
	s_add_i32 s24, s3, s24
	s_lshl_b32 s25, s17, 5
	s_branch .LBB11_8
.LBB11_7:                               ;   in Loop: Header=BB11_8 Depth=1
	s_or_b32 exec_lo, exec_lo, s2
	v_add_nc_u32_e32 v13, 32, v13
	v_add_nc_u32_e32 v0, s25, v0
	v_cmp_le_i32_e32 vcc_lo, s17, v13
	s_or_b32 s4, vcc_lo, s4
	s_andn2_b32 exec_lo, exec_lo, s4
	s_cbranch_execz .LBB11_24
.LBB11_8:                               ; =>This Loop Header: Depth=1
                                        ;     Child Loop BB11_12 Depth 2
                                        ;       Child Loop BB11_15 Depth 3
	v_mov_b32_e32 v9, 0
	v_mov_b32_e32 v11, 0
	;; [unrolled: 1-line block ×4, first 2 shown]
	s_andn2_b32 vcc_lo, exec_lo, s21
	s_cbranch_vccnz .LBB11_19
; %bb.9:                                ;   in Loop: Header=BB11_8 Depth=1
	s_waitcnt lgkmcnt(3)
	v_ashrrev_i32_e32 v17, 31, v0
	v_add_co_u32 v29, vcc_lo, s11, v0
	v_mov_b32_e32 v9, 0
	v_mov_b32_e32 v11, 0
	;; [unrolled: 1-line block ×4, first 2 shown]
	v_add_co_ci_u32_e64 v30, null, s24, v17, vcc_lo
	s_mov_b32 s2, s20
	s_branch .LBB11_12
.LBB11_10:                              ;   in Loop: Header=BB11_12 Depth=2
	s_or_b32 exec_lo, exec_lo, s3
.LBB11_11:                              ;   in Loop: Header=BB11_12 Depth=2
	s_or_b32 exec_lo, exec_lo, s26
	v_add_co_u32 v29, vcc_lo, v29, s7
	v_add_co_ci_u32_e64 v30, null, s5, v30, vcc_lo
	s_add_i32 s2, s2, 1
	s_cmp_ge_i32 s2, s10
	s_cbranch_scc1 .LBB11_19
.LBB11_12:                              ;   Parent Loop BB11_8 Depth=1
                                        ; =>  This Loop Header: Depth=2
                                        ;       Child Loop BB11_15 Depth 3
	s_and_saveexec_b32 s26, s0
	s_cbranch_execz .LBB11_11
; %bb.13:                               ;   in Loop: Header=BB11_12 Depth=2
	s_ashr_i32 s3, s2, 31
	s_waitcnt lgkmcnt(2)
	v_mad_u64_u32 v[17:18], null, s7, s2, v[13:14]
	s_lshl_b64 s[28:29], s[2:3], 2
	s_mul_i32 s3, s7, s3
	s_add_u32 s28, s12, s28
	s_addc_u32 s29, s13, s29
	s_waitcnt lgkmcnt(0)
	v_mov_b32_e32 v20, v16
	s_load_dword s27, s[28:29], 0x0
	s_mul_i32 s28, s5, s2
	v_mov_b32_e32 v31, v23
	v_mov_b32_e32 v19, v15
	v_add3_u32 v18, s3, s28, v18
	s_waitcnt lgkmcnt(0)
	s_sub_i32 s3, s27, s16
	s_mul_i32 s27, s3, s17
	s_mov_b32 s3, 0
	s_branch .LBB11_15
.LBB11_14:                              ;   in Loop: Header=BB11_15 Depth=3
	v_add_nc_u32_e32 v32, s27, v19
	v_lshlrev_b64 v[21:22], 4, v[21:22]
	v_add_nc_u32_e32 v31, s25, v31
	v_ashrrev_i32_e32 v33, 31, v32
	v_add_co_u32 v21, vcc_lo, s14, v21
	v_add_co_ci_u32_e64 v22, null, s15, v22, vcc_lo
	v_lshlrev_b64 v[32:33], 4, v[32:33]
	v_add_co_u32 v36, vcc_lo, s18, v32
	v_add_co_ci_u32_e64 v37, null, s19, v33, vcc_lo
	v_add_co_u32 v19, vcc_lo, v19, 32
	global_load_dwordx4 v[32:35], v[21:22], off
	global_load_dwordx4 v[36:39], v[36:37], off
	v_add_co_ci_u32_e64 v20, null, 0, v20, vcc_lo
	v_cmp_le_i32_e32 vcc_lo, s17, v19
	s_or_b32 s3, vcc_lo, s3
	s_waitcnt vmcnt(0)
	v_fma_f64 v[11:12], v[32:33], v[36:37], v[11:12]
	v_fma_f64 v[9:10], v[34:35], v[36:37], v[9:10]
	v_fma_f64 v[11:12], -v[34:35], v[38:39], v[11:12]
	v_fma_f64 v[9:10], v[32:33], v[38:39], v[9:10]
	s_andn2_b32 exec_lo, exec_lo, s3
	s_cbranch_execz .LBB11_10
.LBB11_15:                              ;   Parent Loop BB11_8 Depth=1
                                        ;     Parent Loop BB11_12 Depth=2
                                        ; =>    This Inner Loop Header: Depth=3
	s_and_b32 vcc_lo, exec_lo, s22
	s_cbranch_vccz .LBB11_17
; %bb.16:                               ;   in Loop: Header=BB11_15 Depth=3
	v_ashrrev_i32_e32 v22, 31, v31
	v_add_co_u32 v21, vcc_lo, v17, v31
	v_add_co_ci_u32_e64 v22, null, v18, v22, vcc_lo
	s_cbranch_execnz .LBB11_14
	s_branch .LBB11_18
.LBB11_17:                              ;   in Loop: Header=BB11_15 Depth=3
                                        ; implicit-def: $vgpr21_vgpr22
.LBB11_18:                              ;   in Loop: Header=BB11_15 Depth=3
	v_add_co_u32 v21, vcc_lo, v29, v19
	v_add_co_ci_u32_e64 v22, null, v30, v20, vcc_lo
	s_branch .LBB11_14
.LBB11_19:                              ;   in Loop: Header=BB11_8 Depth=1
	s_waitcnt lgkmcnt(3)
	ds_bpermute_b32 v17, v24, v11
	s_waitcnt lgkmcnt(3)
	ds_bpermute_b32 v18, v24, v12
	;; [unrolled: 2-line block ×4, first 2 shown]
	s_waitcnt lgkmcnt(2)
	v_add_f64 v[11:12], v[11:12], v[17:18]
	s_waitcnt lgkmcnt(0)
	v_add_f64 v[9:10], v[9:10], v[19:20]
	ds_bpermute_b32 v17, v25, v11
	ds_bpermute_b32 v18, v25, v12
	ds_bpermute_b32 v19, v25, v9
	ds_bpermute_b32 v20, v25, v10
	s_waitcnt lgkmcnt(2)
	v_add_f64 v[11:12], v[11:12], v[17:18]
	s_waitcnt lgkmcnt(0)
	v_add_f64 v[9:10], v[9:10], v[19:20]
	ds_bpermute_b32 v17, v26, v11
	ds_bpermute_b32 v18, v26, v12
	ds_bpermute_b32 v19, v26, v9
	ds_bpermute_b32 v20, v26, v10
	;; [unrolled: 8-line block ×4, first 2 shown]
	s_and_saveexec_b32 s2, s1
	s_cbranch_execz .LBB11_7
; %bb.20:                               ;   in Loop: Header=BB11_8 Depth=1
	s_waitcnt lgkmcnt(0)
	v_add_f64 v[11:12], v[11:12], v[19:20]
	v_add_f64 v[17:18], v[9:10], v[17:18]
	v_mul_f64 v[9:10], v[11:12], -v[3:4]
	v_mul_f64 v[11:12], v[1:2], v[11:12]
	v_fma_f64 v[9:10], v[1:2], v[17:18], v[9:10]
	v_fma_f64 v[11:12], v[3:4], v[17:18], v[11:12]
	v_add_nc_u32_e32 v17, s6, v13
	v_ashrrev_i32_e32 v18, 31, v17
	s_and_saveexec_b32 s3, s23
	s_xor_b32 s3, exec_lo, s3
	s_cbranch_execz .LBB11_22
; %bb.21:                               ;   in Loop: Header=BB11_8 Depth=1
	v_lshlrev_b64 v[17:18], 4, v[17:18]
	v_add_co_u32 v17, vcc_lo, s8, v17
	v_add_co_ci_u32_e64 v18, null, s9, v18, vcc_lo
	global_store_dwordx4 v[17:18], v[9:12], off
                                        ; implicit-def: $vgpr17
                                        ; implicit-def: $vgpr9_vgpr10
.LBB11_22:                              ;   in Loop: Header=BB11_8 Depth=1
	s_andn2_saveexec_b32 s3, s3
	s_cbranch_execz .LBB11_7
; %bb.23:                               ;   in Loop: Header=BB11_8 Depth=1
	v_lshlrev_b64 v[17:18], 4, v[17:18]
	v_add_co_u32 v21, vcc_lo, s8, v17
	v_add_co_ci_u32_e64 v22, null, s9, v18, vcc_lo
	global_load_dwordx4 v[17:20], v[21:22], off
	s_waitcnt vmcnt(0)
	v_fma_f64 v[9:10], v[5:6], v[17:18], v[9:10]
	v_fma_f64 v[11:12], v[7:8], v[17:18], v[11:12]
	v_fma_f64 v[9:10], -v[7:8], v[19:20], v[9:10]
	v_fma_f64 v[11:12], v[5:6], v[19:20], v[11:12]
	global_store_dwordx4 v[21:22], v[9:12], off
	s_branch .LBB11_7
.LBB11_24:
	s_endpgm
	.section	.rodata,"a",@progbits
	.p2align	6, 0x0
	.amdhsa_kernel _ZN9rocsparseL22bsrxmvn_general_kernelILj1024ELj32E21rocsparse_complex_numIdEiiS2_S2_S2_EEv20rocsparse_direction_NS_24const_host_device_scalarIT1_EET3_PKS7_PKT2_SC_S9_PKT4_S7_PKT5_S6_PT6_21rocsparse_index_base_b
		.amdhsa_group_segment_fixed_size 0
		.amdhsa_private_segment_fixed_size 0
		.amdhsa_kernarg_size 120
		.amdhsa_user_sgpr_count 6
		.amdhsa_user_sgpr_private_segment_buffer 1
		.amdhsa_user_sgpr_dispatch_ptr 0
		.amdhsa_user_sgpr_queue_ptr 0
		.amdhsa_user_sgpr_kernarg_segment_ptr 1
		.amdhsa_user_sgpr_dispatch_id 0
		.amdhsa_user_sgpr_flat_scratch_init 0
		.amdhsa_user_sgpr_private_segment_size 0
		.amdhsa_wavefront_size32 1
		.amdhsa_uses_dynamic_stack 0
		.amdhsa_system_sgpr_private_segment_wavefront_offset 0
		.amdhsa_system_sgpr_workgroup_id_x 1
		.amdhsa_system_sgpr_workgroup_id_y 0
		.amdhsa_system_sgpr_workgroup_id_z 0
		.amdhsa_system_sgpr_workgroup_info 0
		.amdhsa_system_vgpr_workitem_id 0
		.amdhsa_next_free_vgpr 40
		.amdhsa_next_free_sgpr 30
		.amdhsa_reserve_vcc 1
		.amdhsa_reserve_flat_scratch 0
		.amdhsa_float_round_mode_32 0
		.amdhsa_float_round_mode_16_64 0
		.amdhsa_float_denorm_mode_32 3
		.amdhsa_float_denorm_mode_16_64 3
		.amdhsa_dx10_clamp 1
		.amdhsa_ieee_mode 1
		.amdhsa_fp16_overflow 0
		.amdhsa_workgroup_processor_mode 1
		.amdhsa_memory_ordered 1
		.amdhsa_forward_progress 1
		.amdhsa_shared_vgpr_count 0
		.amdhsa_exception_fp_ieee_invalid_op 0
		.amdhsa_exception_fp_denorm_src 0
		.amdhsa_exception_fp_ieee_div_zero 0
		.amdhsa_exception_fp_ieee_overflow 0
		.amdhsa_exception_fp_ieee_underflow 0
		.amdhsa_exception_fp_ieee_inexact 0
		.amdhsa_exception_int_div_zero 0
	.end_amdhsa_kernel
	.section	.text._ZN9rocsparseL22bsrxmvn_general_kernelILj1024ELj32E21rocsparse_complex_numIdEiiS2_S2_S2_EEv20rocsparse_direction_NS_24const_host_device_scalarIT1_EET3_PKS7_PKT2_SC_S9_PKT4_S7_PKT5_S6_PT6_21rocsparse_index_base_b,"axG",@progbits,_ZN9rocsparseL22bsrxmvn_general_kernelILj1024ELj32E21rocsparse_complex_numIdEiiS2_S2_S2_EEv20rocsparse_direction_NS_24const_host_device_scalarIT1_EET3_PKS7_PKT2_SC_S9_PKT4_S7_PKT5_S6_PT6_21rocsparse_index_base_b,comdat
.Lfunc_end11:
	.size	_ZN9rocsparseL22bsrxmvn_general_kernelILj1024ELj32E21rocsparse_complex_numIdEiiS2_S2_S2_EEv20rocsparse_direction_NS_24const_host_device_scalarIT1_EET3_PKS7_PKT2_SC_S9_PKT4_S7_PKT5_S6_PT6_21rocsparse_index_base_b, .Lfunc_end11-_ZN9rocsparseL22bsrxmvn_general_kernelILj1024ELj32E21rocsparse_complex_numIdEiiS2_S2_S2_EEv20rocsparse_direction_NS_24const_host_device_scalarIT1_EET3_PKS7_PKT2_SC_S9_PKT4_S7_PKT5_S6_PT6_21rocsparse_index_base_b
                                        ; -- End function
	.set _ZN9rocsparseL22bsrxmvn_general_kernelILj1024ELj32E21rocsparse_complex_numIdEiiS2_S2_S2_EEv20rocsparse_direction_NS_24const_host_device_scalarIT1_EET3_PKS7_PKT2_SC_S9_PKT4_S7_PKT5_S6_PT6_21rocsparse_index_base_b.num_vgpr, 40
	.set _ZN9rocsparseL22bsrxmvn_general_kernelILj1024ELj32E21rocsparse_complex_numIdEiiS2_S2_S2_EEv20rocsparse_direction_NS_24const_host_device_scalarIT1_EET3_PKS7_PKT2_SC_S9_PKT4_S7_PKT5_S6_PT6_21rocsparse_index_base_b.num_agpr, 0
	.set _ZN9rocsparseL22bsrxmvn_general_kernelILj1024ELj32E21rocsparse_complex_numIdEiiS2_S2_S2_EEv20rocsparse_direction_NS_24const_host_device_scalarIT1_EET3_PKS7_PKT2_SC_S9_PKT4_S7_PKT5_S6_PT6_21rocsparse_index_base_b.numbered_sgpr, 30
	.set _ZN9rocsparseL22bsrxmvn_general_kernelILj1024ELj32E21rocsparse_complex_numIdEiiS2_S2_S2_EEv20rocsparse_direction_NS_24const_host_device_scalarIT1_EET3_PKS7_PKT2_SC_S9_PKT4_S7_PKT5_S6_PT6_21rocsparse_index_base_b.num_named_barrier, 0
	.set _ZN9rocsparseL22bsrxmvn_general_kernelILj1024ELj32E21rocsparse_complex_numIdEiiS2_S2_S2_EEv20rocsparse_direction_NS_24const_host_device_scalarIT1_EET3_PKS7_PKT2_SC_S9_PKT4_S7_PKT5_S6_PT6_21rocsparse_index_base_b.private_seg_size, 0
	.set _ZN9rocsparseL22bsrxmvn_general_kernelILj1024ELj32E21rocsparse_complex_numIdEiiS2_S2_S2_EEv20rocsparse_direction_NS_24const_host_device_scalarIT1_EET3_PKS7_PKT2_SC_S9_PKT4_S7_PKT5_S6_PT6_21rocsparse_index_base_b.uses_vcc, 1
	.set _ZN9rocsparseL22bsrxmvn_general_kernelILj1024ELj32E21rocsparse_complex_numIdEiiS2_S2_S2_EEv20rocsparse_direction_NS_24const_host_device_scalarIT1_EET3_PKS7_PKT2_SC_S9_PKT4_S7_PKT5_S6_PT6_21rocsparse_index_base_b.uses_flat_scratch, 0
	.set _ZN9rocsparseL22bsrxmvn_general_kernelILj1024ELj32E21rocsparse_complex_numIdEiiS2_S2_S2_EEv20rocsparse_direction_NS_24const_host_device_scalarIT1_EET3_PKS7_PKT2_SC_S9_PKT4_S7_PKT5_S6_PT6_21rocsparse_index_base_b.has_dyn_sized_stack, 0
	.set _ZN9rocsparseL22bsrxmvn_general_kernelILj1024ELj32E21rocsparse_complex_numIdEiiS2_S2_S2_EEv20rocsparse_direction_NS_24const_host_device_scalarIT1_EET3_PKS7_PKT2_SC_S9_PKT4_S7_PKT5_S6_PT6_21rocsparse_index_base_b.has_recursion, 0
	.set _ZN9rocsparseL22bsrxmvn_general_kernelILj1024ELj32E21rocsparse_complex_numIdEiiS2_S2_S2_EEv20rocsparse_direction_NS_24const_host_device_scalarIT1_EET3_PKS7_PKT2_SC_S9_PKT4_S7_PKT5_S6_PT6_21rocsparse_index_base_b.has_indirect_call, 0
	.section	.AMDGPU.csdata,"",@progbits
; Kernel info:
; codeLenInByte = 1536
; TotalNumSgprs: 32
; NumVgprs: 40
; ScratchSize: 0
; MemoryBound: 0
; FloatMode: 240
; IeeeMode: 1
; LDSByteSize: 0 bytes/workgroup (compile time only)
; SGPRBlocks: 0
; VGPRBlocks: 4
; NumSGPRsForWavesPerEU: 32
; NumVGPRsForWavesPerEU: 40
; Occupancy: 16
; WaveLimiterHint : 1
; COMPUTE_PGM_RSRC2:SCRATCH_EN: 0
; COMPUTE_PGM_RSRC2:USER_SGPR: 6
; COMPUTE_PGM_RSRC2:TRAP_HANDLER: 0
; COMPUTE_PGM_RSRC2:TGID_X_EN: 1
; COMPUTE_PGM_RSRC2:TGID_Y_EN: 0
; COMPUTE_PGM_RSRC2:TGID_Z_EN: 0
; COMPUTE_PGM_RSRC2:TIDIG_COMP_CNT: 0
	.section	.text._ZN9rocsparseL22bsrxmvn_general_kernelILj64ELj8EflifffEEv20rocsparse_direction_NS_24const_host_device_scalarIT1_EET3_PKS5_PKT2_SA_S7_PKT4_S5_PKT5_S4_PT6_21rocsparse_index_base_b,"axG",@progbits,_ZN9rocsparseL22bsrxmvn_general_kernelILj64ELj8EflifffEEv20rocsparse_direction_NS_24const_host_device_scalarIT1_EET3_PKS5_PKT2_SA_S7_PKT4_S5_PKT5_S4_PT6_21rocsparse_index_base_b,comdat
	.globl	_ZN9rocsparseL22bsrxmvn_general_kernelILj64ELj8EflifffEEv20rocsparse_direction_NS_24const_host_device_scalarIT1_EET3_PKS5_PKT2_SA_S7_PKT4_S5_PKT5_S4_PT6_21rocsparse_index_base_b ; -- Begin function _ZN9rocsparseL22bsrxmvn_general_kernelILj64ELj8EflifffEEv20rocsparse_direction_NS_24const_host_device_scalarIT1_EET3_PKS5_PKT2_SA_S7_PKT4_S5_PKT5_S4_PT6_21rocsparse_index_base_b
	.p2align	8
	.type	_ZN9rocsparseL22bsrxmvn_general_kernelILj64ELj8EflifffEEv20rocsparse_direction_NS_24const_host_device_scalarIT1_EET3_PKS5_PKT2_SA_S7_PKT4_S5_PKT5_S4_PT6_21rocsparse_index_base_b,@function
_ZN9rocsparseL22bsrxmvn_general_kernelILj64ELj8EflifffEEv20rocsparse_direction_NS_24const_host_device_scalarIT1_EET3_PKS5_PKT2_SA_S7_PKT4_S5_PKT5_S4_PT6_21rocsparse_index_base_b: ; @_ZN9rocsparseL22bsrxmvn_general_kernelILj64ELj8EflifffEEv20rocsparse_direction_NS_24const_host_device_scalarIT1_EET3_PKS5_PKT2_SA_S7_PKT4_S5_PKT5_S4_PT6_21rocsparse_index_base_b
; %bb.0:
	s_clause 0x2
	s_load_dwordx2 s[2:3], s[4:5], 0x60
	s_load_dwordx2 s[16:17], s[4:5], 0x8
	;; [unrolled: 1-line block ×3, first 2 shown]
	s_waitcnt lgkmcnt(0)
	s_bitcmp1_b32 s3, 0
	s_cselect_b32 s0, -1, 0
	s_and_b32 vcc_lo, exec_lo, s0
	s_xor_b32 s0, s0, -1
	s_cbranch_vccnz .LBB12_2
; %bb.1:
	s_load_dword s16, s[16:17], 0x0
.LBB12_2:
	s_andn2_b32 vcc_lo, exec_lo, s0
	s_cbranch_vccnz .LBB12_4
; %bb.3:
	s_load_dword s18, s[18:19], 0x0
.LBB12_4:
	s_waitcnt lgkmcnt(0)
	v_cmp_neq_f32_e64 s0, s16, 0
	v_cmp_neq_f32_e64 s1, s18, 1.0
	s_or_b32 s0, s0, s1
	s_andn2_b32 vcc_lo, exec_lo, s0
	s_cbranch_vccnz .LBB12_26
; %bb.5:
	s_load_dwordx2 s[0:1], s[4:5], 0x18
	s_waitcnt lgkmcnt(0)
	s_cmp_eq_u64 s[0:1], 0
	s_cbranch_scc1 .LBB12_7
; %bb.6:
	s_ashr_i32 s7, s6, 31
	s_lshl_b64 s[6:7], s[6:7], 2
	s_add_u32 s0, s0, s6
	s_addc_u32 s1, s1, s7
	s_load_dword s0, s[0:1], 0x0
	s_waitcnt lgkmcnt(0)
	s_sub_i32 s6, s0, s2
.LBB12_7:
	s_load_dword s3, s[4:5], 0x40
	v_lshrrev_b32_e32 v1, 3, v0
	s_mov_b32 s0, exec_lo
	s_waitcnt lgkmcnt(0)
	v_cmpx_gt_i32_e64 s3, v1
	s_cbranch_execz .LBB12_26
; %bb.8:
	s_load_dwordx8 s[8:15], s[4:5], 0x20
	s_ashr_i32 s7, s6, 31
	s_load_dword s28, s[4:5], 0x0
	s_lshl_b64 s[0:1], s[6:7], 3
	v_mbcnt_lo_u32_b32 v2, -1, 0
	v_and_b32_e32 v3, 7, v0
	s_mul_hi_u32 s19, s3, s3
	s_mul_i32 s22, s3, s3
	v_mul_lo_u32 v0, s3, v1
	v_xor_b32_e32 v5, 4, v2
	v_xor_b32_e32 v6, 2, v2
	;; [unrolled: 1-line block ×3, first 2 shown]
	v_mul_lo_u32 v11, s3, v3
	v_cmp_eq_f32_e64 s23, s18, 0
	v_cmp_gt_i32_e32 vcc_lo, 32, v5
	v_mov_b32_e32 v4, 0
	s_mov_b32 s17, 0
	v_cndmask_b32_e32 v5, v2, v5, vcc_lo
	s_waitcnt lgkmcnt(0)
	s_add_u32 s24, s8, s0
	s_addc_u32 s25, s9, s1
	v_cmp_gt_i32_e32 vcc_lo, 32, v6
	s_load_dwordx2 s[26:27], s[24:25], 0x0
	s_clause 0x1
	s_load_dwordx2 s[8:9], s[4:5], 0x58
	s_load_dwordx2 s[20:21], s[4:5], 0x48
	v_lshlrev_b32_e32 v12, 2, v5
	v_cndmask_b32_e32 v6, v2, v6, vcc_lo
	v_cmp_gt_i32_e32 vcc_lo, 32, v7
	v_lshlrev_b32_e32 v13, 2, v6
	v_cndmask_b32_e32 v2, v2, v7, vcc_lo
	v_lshlrev_b32_e32 v14, 2, v2
	s_waitcnt lgkmcnt(0)
	s_sub_u32 s4, s26, s2
	s_subb_u32 s5, s27, 0
	s_add_u32 s7, s24, 8
	s_addc_u32 s25, s25, 0
	s_add_u32 s0, s10, s0
	s_addc_u32 s1, s11, s1
	s_cmp_eq_u64 s[10:11], 0
	s_mul_i32 s24, s6, s3
	s_cselect_b32 s1, s25, s1
	s_cselect_b32 s0, s7, s0
	s_mul_i32 s29, s4, s19
	s_load_dwordx2 s[10:11], s[0:1], 0x0
	s_mul_hi_u32 s30, s4, s22
	v_cmp_gt_u32_e64 s0, s3, v3
	v_cmp_eq_u32_e64 s1, 7, v3
	s_mul_i32 s31, s5, s22
	s_waitcnt lgkmcnt(0)
	s_sub_u32 s6, s10, s2
	s_subb_u32 s7, s11, 0
	s_cmp_lg_u32 s28, 0
	v_cmp_lt_i64_e64 s25, s[26:27], s[10:11]
	s_cselect_b32 s26, -1, 0
	s_add_i32 s10, s30, s29
	s_mul_i32 s27, s4, s22
	s_add_i32 s28, s10, s31
	s_lshl_b32 s29, s3, 3
	s_branch .LBB12_10
.LBB12_9:                               ;   in Loop: Header=BB12_10 Depth=1
	s_or_b32 exec_lo, exec_lo, s10
	v_add_nc_u32_e32 v1, 8, v1
	v_add_nc_u32_e32 v0, s29, v0
	v_cmp_le_i32_e32 vcc_lo, s3, v1
	s_or_b32 s17, vcc_lo, s17
	s_andn2_b32 exec_lo, exec_lo, s17
	s_cbranch_execz .LBB12_26
.LBB12_10:                              ; =>This Loop Header: Depth=1
                                        ;     Child Loop BB12_14 Depth 2
                                        ;       Child Loop BB12_17 Depth 3
	v_mov_b32_e32 v15, 0
	s_andn2_b32 vcc_lo, exec_lo, s25
	s_cbranch_vccnz .LBB12_21
; %bb.11:                               ;   in Loop: Header=BB12_10 Depth=1
	s_waitcnt lgkmcnt(0)
	v_ashrrev_i32_e32 v5, 31, v0
	v_add_co_u32 v16, vcc_lo, s27, v0
	v_ashrrev_i32_e32 v2, 31, v1
	v_mov_b32_e32 v15, 0
	v_add_co_ci_u32_e64 v17, null, s28, v5, vcc_lo
	s_mov_b64 s[10:11], s[4:5]
	s_branch .LBB12_14
.LBB12_12:                              ;   in Loop: Header=BB12_14 Depth=2
	s_inst_prefetch 0x2
	s_or_b32 exec_lo, exec_lo, s31
.LBB12_13:                              ;   in Loop: Header=BB12_14 Depth=2
	s_or_b32 exec_lo, exec_lo, s30
	s_add_u32 s10, s10, 1
	s_addc_u32 s11, s11, 0
	v_add_co_u32 v16, vcc_lo, v16, s22
	v_cmp_ge_i64_e64 s30, s[10:11], s[6:7]
	v_add_co_ci_u32_e64 v17, null, s19, v17, vcc_lo
	s_and_b32 vcc_lo, exec_lo, s30
	s_cbranch_vccnz .LBB12_21
.LBB12_14:                              ;   Parent Loop BB12_10 Depth=1
                                        ; =>  This Loop Header: Depth=2
                                        ;       Child Loop BB12_17 Depth 3
	s_and_saveexec_b32 s30, s0
	s_cbranch_execz .LBB12_13
; %bb.15:                               ;   in Loop: Header=BB12_14 Depth=2
	s_lshl_b64 s[34:35], s[10:11], 2
	v_mad_u64_u32 v[5:6], null, s22, s10, v[1:2]
	s_add_u32 s34, s12, s34
	s_addc_u32 s35, s13, s35
	s_mul_i32 s33, s19, s10
	s_load_dword s31, s[34:35], 0x0
	s_mul_i32 s34, s22, s11
	v_mov_b32_e32 v8, v4
	v_mov_b32_e32 v18, v11
	;; [unrolled: 1-line block ×3, first 2 shown]
	v_add3_u32 v6, s34, s33, v6
	s_waitcnt lgkmcnt(0)
	s_sub_i32 s31, s31, s2
	s_mul_i32 s33, s31, s3
	s_mov_b32 s31, 0
	s_inst_prefetch 0x1
	s_branch .LBB12_17
	.p2align	6
.LBB12_16:                              ;   in Loop: Header=BB12_17 Depth=3
	v_add_nc_u32_e32 v19, s33, v7
	v_lshlrev_b64 v[9:10], 2, v[9:10]
	v_add_nc_u32_e32 v18, s29, v18
	v_ashrrev_i32_e32 v20, 31, v19
	v_add_co_u32 v9, vcc_lo, s14, v9
	v_add_co_ci_u32_e64 v10, null, s15, v10, vcc_lo
	v_lshlrev_b64 v[19:20], 2, v[19:20]
	v_add_co_u32 v19, vcc_lo, s20, v19
	v_add_co_ci_u32_e64 v20, null, s21, v20, vcc_lo
	v_add_co_u32 v7, vcc_lo, v7, 8
	global_load_dword v9, v[9:10], off
	global_load_dword v10, v[19:20], off
	v_add_co_ci_u32_e64 v8, null, 0, v8, vcc_lo
	v_cmp_le_i32_e32 vcc_lo, s3, v7
	s_or_b32 s31, vcc_lo, s31
	s_waitcnt vmcnt(0)
	v_fmac_f32_e32 v15, v9, v10
	s_andn2_b32 exec_lo, exec_lo, s31
	s_cbranch_execz .LBB12_12
.LBB12_17:                              ;   Parent Loop BB12_10 Depth=1
                                        ;     Parent Loop BB12_14 Depth=2
                                        ; =>    This Inner Loop Header: Depth=3
	s_and_b32 vcc_lo, exec_lo, s26
	s_cbranch_vccz .LBB12_19
; %bb.18:                               ;   in Loop: Header=BB12_17 Depth=3
	v_ashrrev_i32_e32 v10, 31, v18
	v_add_co_u32 v9, vcc_lo, v5, v18
	v_add_co_ci_u32_e64 v10, null, v6, v10, vcc_lo
	s_cbranch_execnz .LBB12_16
	s_branch .LBB12_20
.LBB12_19:                              ;   in Loop: Header=BB12_17 Depth=3
                                        ; implicit-def: $vgpr9_vgpr10
.LBB12_20:                              ;   in Loop: Header=BB12_17 Depth=3
	v_add_co_u32 v9, vcc_lo, v16, v7
	v_add_co_ci_u32_e64 v10, null, v17, v8, vcc_lo
	s_branch .LBB12_16
.LBB12_21:                              ;   in Loop: Header=BB12_10 Depth=1
	ds_bpermute_b32 v2, v12, v15
	s_waitcnt lgkmcnt(0)
	v_add_f32_e32 v2, v15, v2
	ds_bpermute_b32 v5, v13, v2
	s_waitcnt lgkmcnt(0)
	v_add_f32_e32 v2, v2, v5
	ds_bpermute_b32 v5, v14, v2
	s_and_saveexec_b32 s10, s1
	s_cbranch_execz .LBB12_9
; %bb.22:                               ;   in Loop: Header=BB12_10 Depth=1
	s_waitcnt lgkmcnt(0)
	v_add_f32_e32 v2, v2, v5
	v_add_nc_u32_e32 v5, s24, v1
	s_and_b32 vcc_lo, exec_lo, s23
	v_mul_f32_e32 v2, s16, v2
	v_ashrrev_i32_e32 v6, 31, v5
	s_cbranch_vccz .LBB12_24
; %bb.23:                               ;   in Loop: Header=BB12_10 Depth=1
	v_lshlrev_b64 v[7:8], 2, v[5:6]
	v_add_co_u32 v7, vcc_lo, s8, v7
	v_add_co_ci_u32_e64 v8, null, s9, v8, vcc_lo
	global_store_dword v[7:8], v2, off
	s_cbranch_execnz .LBB12_9
	s_branch .LBB12_25
.LBB12_24:                              ;   in Loop: Header=BB12_10 Depth=1
.LBB12_25:                              ;   in Loop: Header=BB12_10 Depth=1
	v_lshlrev_b64 v[5:6], 2, v[5:6]
	v_add_co_u32 v5, vcc_lo, s8, v5
	v_add_co_ci_u32_e64 v6, null, s9, v6, vcc_lo
	global_load_dword v7, v[5:6], off
	s_waitcnt vmcnt(0)
	v_fmac_f32_e32 v2, s18, v7
	global_store_dword v[5:6], v2, off
	s_branch .LBB12_9
.LBB12_26:
	s_endpgm
	.section	.rodata,"a",@progbits
	.p2align	6, 0x0
	.amdhsa_kernel _ZN9rocsparseL22bsrxmvn_general_kernelILj64ELj8EflifffEEv20rocsparse_direction_NS_24const_host_device_scalarIT1_EET3_PKS5_PKT2_SA_S7_PKT4_S5_PKT5_S4_PT6_21rocsparse_index_base_b
		.amdhsa_group_segment_fixed_size 0
		.amdhsa_private_segment_fixed_size 0
		.amdhsa_kernarg_size 104
		.amdhsa_user_sgpr_count 6
		.amdhsa_user_sgpr_private_segment_buffer 1
		.amdhsa_user_sgpr_dispatch_ptr 0
		.amdhsa_user_sgpr_queue_ptr 0
		.amdhsa_user_sgpr_kernarg_segment_ptr 1
		.amdhsa_user_sgpr_dispatch_id 0
		.amdhsa_user_sgpr_flat_scratch_init 0
		.amdhsa_user_sgpr_private_segment_size 0
		.amdhsa_wavefront_size32 1
		.amdhsa_uses_dynamic_stack 0
		.amdhsa_system_sgpr_private_segment_wavefront_offset 0
		.amdhsa_system_sgpr_workgroup_id_x 1
		.amdhsa_system_sgpr_workgroup_id_y 0
		.amdhsa_system_sgpr_workgroup_id_z 0
		.amdhsa_system_sgpr_workgroup_info 0
		.amdhsa_system_vgpr_workitem_id 0
		.amdhsa_next_free_vgpr 21
		.amdhsa_next_free_sgpr 36
		.amdhsa_reserve_vcc 1
		.amdhsa_reserve_flat_scratch 0
		.amdhsa_float_round_mode_32 0
		.amdhsa_float_round_mode_16_64 0
		.amdhsa_float_denorm_mode_32 3
		.amdhsa_float_denorm_mode_16_64 3
		.amdhsa_dx10_clamp 1
		.amdhsa_ieee_mode 1
		.amdhsa_fp16_overflow 0
		.amdhsa_workgroup_processor_mode 1
		.amdhsa_memory_ordered 1
		.amdhsa_forward_progress 1
		.amdhsa_shared_vgpr_count 0
		.amdhsa_exception_fp_ieee_invalid_op 0
		.amdhsa_exception_fp_denorm_src 0
		.amdhsa_exception_fp_ieee_div_zero 0
		.amdhsa_exception_fp_ieee_overflow 0
		.amdhsa_exception_fp_ieee_underflow 0
		.amdhsa_exception_fp_ieee_inexact 0
		.amdhsa_exception_int_div_zero 0
	.end_amdhsa_kernel
	.section	.text._ZN9rocsparseL22bsrxmvn_general_kernelILj64ELj8EflifffEEv20rocsparse_direction_NS_24const_host_device_scalarIT1_EET3_PKS5_PKT2_SA_S7_PKT4_S5_PKT5_S4_PT6_21rocsparse_index_base_b,"axG",@progbits,_ZN9rocsparseL22bsrxmvn_general_kernelILj64ELj8EflifffEEv20rocsparse_direction_NS_24const_host_device_scalarIT1_EET3_PKS5_PKT2_SA_S7_PKT4_S5_PKT5_S4_PT6_21rocsparse_index_base_b,comdat
.Lfunc_end12:
	.size	_ZN9rocsparseL22bsrxmvn_general_kernelILj64ELj8EflifffEEv20rocsparse_direction_NS_24const_host_device_scalarIT1_EET3_PKS5_PKT2_SA_S7_PKT4_S5_PKT5_S4_PT6_21rocsparse_index_base_b, .Lfunc_end12-_ZN9rocsparseL22bsrxmvn_general_kernelILj64ELj8EflifffEEv20rocsparse_direction_NS_24const_host_device_scalarIT1_EET3_PKS5_PKT2_SA_S7_PKT4_S5_PKT5_S4_PT6_21rocsparse_index_base_b
                                        ; -- End function
	.set _ZN9rocsparseL22bsrxmvn_general_kernelILj64ELj8EflifffEEv20rocsparse_direction_NS_24const_host_device_scalarIT1_EET3_PKS5_PKT2_SA_S7_PKT4_S5_PKT5_S4_PT6_21rocsparse_index_base_b.num_vgpr, 21
	.set _ZN9rocsparseL22bsrxmvn_general_kernelILj64ELj8EflifffEEv20rocsparse_direction_NS_24const_host_device_scalarIT1_EET3_PKS5_PKT2_SA_S7_PKT4_S5_PKT5_S4_PT6_21rocsparse_index_base_b.num_agpr, 0
	.set _ZN9rocsparseL22bsrxmvn_general_kernelILj64ELj8EflifffEEv20rocsparse_direction_NS_24const_host_device_scalarIT1_EET3_PKS5_PKT2_SA_S7_PKT4_S5_PKT5_S4_PT6_21rocsparse_index_base_b.numbered_sgpr, 36
	.set _ZN9rocsparseL22bsrxmvn_general_kernelILj64ELj8EflifffEEv20rocsparse_direction_NS_24const_host_device_scalarIT1_EET3_PKS5_PKT2_SA_S7_PKT4_S5_PKT5_S4_PT6_21rocsparse_index_base_b.num_named_barrier, 0
	.set _ZN9rocsparseL22bsrxmvn_general_kernelILj64ELj8EflifffEEv20rocsparse_direction_NS_24const_host_device_scalarIT1_EET3_PKS5_PKT2_SA_S7_PKT4_S5_PKT5_S4_PT6_21rocsparse_index_base_b.private_seg_size, 0
	.set _ZN9rocsparseL22bsrxmvn_general_kernelILj64ELj8EflifffEEv20rocsparse_direction_NS_24const_host_device_scalarIT1_EET3_PKS5_PKT2_SA_S7_PKT4_S5_PKT5_S4_PT6_21rocsparse_index_base_b.uses_vcc, 1
	.set _ZN9rocsparseL22bsrxmvn_general_kernelILj64ELj8EflifffEEv20rocsparse_direction_NS_24const_host_device_scalarIT1_EET3_PKS5_PKT2_SA_S7_PKT4_S5_PKT5_S4_PT6_21rocsparse_index_base_b.uses_flat_scratch, 0
	.set _ZN9rocsparseL22bsrxmvn_general_kernelILj64ELj8EflifffEEv20rocsparse_direction_NS_24const_host_device_scalarIT1_EET3_PKS5_PKT2_SA_S7_PKT4_S5_PKT5_S4_PT6_21rocsparse_index_base_b.has_dyn_sized_stack, 0
	.set _ZN9rocsparseL22bsrxmvn_general_kernelILj64ELj8EflifffEEv20rocsparse_direction_NS_24const_host_device_scalarIT1_EET3_PKS5_PKT2_SA_S7_PKT4_S5_PKT5_S4_PT6_21rocsparse_index_base_b.has_recursion, 0
	.set _ZN9rocsparseL22bsrxmvn_general_kernelILj64ELj8EflifffEEv20rocsparse_direction_NS_24const_host_device_scalarIT1_EET3_PKS5_PKT2_SA_S7_PKT4_S5_PKT5_S4_PT6_21rocsparse_index_base_b.has_indirect_call, 0
	.section	.AMDGPU.csdata,"",@progbits
; Kernel info:
; codeLenInByte = 1048
; TotalNumSgprs: 38
; NumVgprs: 21
; ScratchSize: 0
; MemoryBound: 0
; FloatMode: 240
; IeeeMode: 1
; LDSByteSize: 0 bytes/workgroup (compile time only)
; SGPRBlocks: 0
; VGPRBlocks: 2
; NumSGPRsForWavesPerEU: 38
; NumVGPRsForWavesPerEU: 21
; Occupancy: 16
; WaveLimiterHint : 1
; COMPUTE_PGM_RSRC2:SCRATCH_EN: 0
; COMPUTE_PGM_RSRC2:USER_SGPR: 6
; COMPUTE_PGM_RSRC2:TRAP_HANDLER: 0
; COMPUTE_PGM_RSRC2:TGID_X_EN: 1
; COMPUTE_PGM_RSRC2:TGID_Y_EN: 0
; COMPUTE_PGM_RSRC2:TGID_Z_EN: 0
; COMPUTE_PGM_RSRC2:TIDIG_COMP_CNT: 0
	.section	.text._ZN9rocsparseL22bsrxmvn_general_kernelILj256ELj16EflifffEEv20rocsparse_direction_NS_24const_host_device_scalarIT1_EET3_PKS5_PKT2_SA_S7_PKT4_S5_PKT5_S4_PT6_21rocsparse_index_base_b,"axG",@progbits,_ZN9rocsparseL22bsrxmvn_general_kernelILj256ELj16EflifffEEv20rocsparse_direction_NS_24const_host_device_scalarIT1_EET3_PKS5_PKT2_SA_S7_PKT4_S5_PKT5_S4_PT6_21rocsparse_index_base_b,comdat
	.globl	_ZN9rocsparseL22bsrxmvn_general_kernelILj256ELj16EflifffEEv20rocsparse_direction_NS_24const_host_device_scalarIT1_EET3_PKS5_PKT2_SA_S7_PKT4_S5_PKT5_S4_PT6_21rocsparse_index_base_b ; -- Begin function _ZN9rocsparseL22bsrxmvn_general_kernelILj256ELj16EflifffEEv20rocsparse_direction_NS_24const_host_device_scalarIT1_EET3_PKS5_PKT2_SA_S7_PKT4_S5_PKT5_S4_PT6_21rocsparse_index_base_b
	.p2align	8
	.type	_ZN9rocsparseL22bsrxmvn_general_kernelILj256ELj16EflifffEEv20rocsparse_direction_NS_24const_host_device_scalarIT1_EET3_PKS5_PKT2_SA_S7_PKT4_S5_PKT5_S4_PT6_21rocsparse_index_base_b,@function
_ZN9rocsparseL22bsrxmvn_general_kernelILj256ELj16EflifffEEv20rocsparse_direction_NS_24const_host_device_scalarIT1_EET3_PKS5_PKT2_SA_S7_PKT4_S5_PKT5_S4_PT6_21rocsparse_index_base_b: ; @_ZN9rocsparseL22bsrxmvn_general_kernelILj256ELj16EflifffEEv20rocsparse_direction_NS_24const_host_device_scalarIT1_EET3_PKS5_PKT2_SA_S7_PKT4_S5_PKT5_S4_PT6_21rocsparse_index_base_b
; %bb.0:
	s_clause 0x2
	s_load_dwordx2 s[2:3], s[4:5], 0x60
	s_load_dwordx2 s[16:17], s[4:5], 0x8
	;; [unrolled: 1-line block ×3, first 2 shown]
	s_waitcnt lgkmcnt(0)
	s_bitcmp1_b32 s3, 0
	s_cselect_b32 s0, -1, 0
	s_and_b32 vcc_lo, exec_lo, s0
	s_xor_b32 s0, s0, -1
	s_cbranch_vccnz .LBB13_2
; %bb.1:
	s_load_dword s16, s[16:17], 0x0
.LBB13_2:
	s_andn2_b32 vcc_lo, exec_lo, s0
	s_cbranch_vccnz .LBB13_4
; %bb.3:
	s_load_dword s18, s[18:19], 0x0
.LBB13_4:
	s_waitcnt lgkmcnt(0)
	v_cmp_neq_f32_e64 s0, s16, 0
	v_cmp_neq_f32_e64 s1, s18, 1.0
	s_or_b32 s0, s0, s1
	s_andn2_b32 vcc_lo, exec_lo, s0
	s_cbranch_vccnz .LBB13_26
; %bb.5:
	s_load_dwordx2 s[0:1], s[4:5], 0x18
	s_waitcnt lgkmcnt(0)
	s_cmp_eq_u64 s[0:1], 0
	s_cbranch_scc1 .LBB13_7
; %bb.6:
	s_ashr_i32 s7, s6, 31
	s_lshl_b64 s[6:7], s[6:7], 2
	s_add_u32 s0, s0, s6
	s_addc_u32 s1, s1, s7
	s_load_dword s0, s[0:1], 0x0
	s_waitcnt lgkmcnt(0)
	s_sub_i32 s6, s0, s2
.LBB13_7:
	s_load_dword s3, s[4:5], 0x40
	v_lshrrev_b32_e32 v1, 4, v0
	s_mov_b32 s0, exec_lo
	s_waitcnt lgkmcnt(0)
	v_cmpx_gt_i32_e64 s3, v1
	s_cbranch_execz .LBB13_26
; %bb.8:
	s_load_dwordx8 s[8:15], s[4:5], 0x20
	s_ashr_i32 s7, s6, 31
	v_mbcnt_lo_u32_b32 v2, -1, 0
	s_lshl_b64 s[28:29], s[6:7], 3
	s_load_dword s27, s[4:5], 0x0
	s_mul_i32 s26, s6, s3
	v_and_b32_e32 v3, 15, v0
	v_xor_b32_e32 v5, 8, v2
	v_xor_b32_e32 v6, 4, v2
	;; [unrolled: 1-line block ×4, first 2 shown]
	s_mul_hi_u32 s19, s3, s3
	v_cmp_gt_i32_e32 vcc_lo, 32, v5
	s_mul_i32 s24, s3, s3
	v_mul_lo_u32 v0, s3, v1
	v_mul_lo_u32 v11, s3, v3
	v_cmp_eq_f32_e64 s25, s18, 0
	v_cndmask_b32_e32 v5, v2, v5, vcc_lo
	v_cmp_gt_i32_e32 vcc_lo, 32, v6
	v_mov_b32_e32 v4, 0
	s_waitcnt lgkmcnt(0)
	s_add_u32 s30, s8, s28
	s_addc_u32 s31, s9, s29
	v_cmp_gt_u32_e64 s0, s3, v3
	s_load_dwordx2 s[22:23], s[30:31], 0x0
	s_clause 0x1
	s_load_dwordx2 s[8:9], s[4:5], 0x58
	s_load_dwordx2 s[20:21], s[4:5], 0x48
	v_cndmask_b32_e32 v6, v2, v6, vcc_lo
	v_cmp_gt_i32_e32 vcc_lo, 32, v7
	v_lshlrev_b32_e32 v12, 2, v5
	s_mov_b32 s17, 0
	v_lshlrev_b32_e32 v13, 2, v6
	v_cndmask_b32_e32 v7, v2, v7, vcc_lo
	v_cmp_gt_i32_e32 vcc_lo, 32, v8
	v_lshlrev_b32_e32 v14, 2, v7
	v_cndmask_b32_e32 v2, v2, v8, vcc_lo
	v_lshlrev_b32_e32 v15, 2, v2
	s_waitcnt lgkmcnt(0)
	s_sub_u32 s4, s22, s2
	s_subb_u32 s5, s23, 0
	s_add_u32 s1, s30, 8
	s_addc_u32 s6, s31, 0
	s_add_u32 s28, s10, s28
	s_addc_u32 s7, s11, s29
	s_cmp_eq_u64 s[10:11], 0
	s_mul_hi_u32 s29, s4, s24
	s_cselect_b32 s7, s6, s7
	s_cselect_b32 s6, s1, s28
	s_mul_i32 s28, s4, s19
	s_load_dwordx2 s[10:11], s[6:7], 0x0
	v_cmp_eq_u32_e64 s1, 15, v3
	s_mul_i32 s30, s5, s24
	s_waitcnt lgkmcnt(0)
	s_sub_u32 s6, s10, s2
	s_subb_u32 s7, s11, 0
	s_cmp_lg_u32 s27, 0
	v_cmp_lt_i64_e64 s22, s[22:23], s[10:11]
	s_cselect_b32 s23, -1, 0
	s_add_i32 s10, s29, s28
	s_mul_i32 s27, s4, s24
	s_add_i32 s28, s10, s30
	s_lshl_b32 s29, s3, 4
	s_branch .LBB13_10
.LBB13_9:                               ;   in Loop: Header=BB13_10 Depth=1
	s_or_b32 exec_lo, exec_lo, s10
	v_add_nc_u32_e32 v1, 16, v1
	v_add_nc_u32_e32 v0, s29, v0
	v_cmp_le_i32_e32 vcc_lo, s3, v1
	s_or_b32 s17, vcc_lo, s17
	s_andn2_b32 exec_lo, exec_lo, s17
	s_cbranch_execz .LBB13_26
.LBB13_10:                              ; =>This Loop Header: Depth=1
                                        ;     Child Loop BB13_14 Depth 2
                                        ;       Child Loop BB13_17 Depth 3
	v_mov_b32_e32 v16, 0
	s_andn2_b32 vcc_lo, exec_lo, s22
	s_cbranch_vccnz .LBB13_21
; %bb.11:                               ;   in Loop: Header=BB13_10 Depth=1
	s_waitcnt lgkmcnt(0)
	v_ashrrev_i32_e32 v5, 31, v0
	v_add_co_u32 v17, vcc_lo, s27, v0
	v_ashrrev_i32_e32 v2, 31, v1
	v_mov_b32_e32 v16, 0
	v_add_co_ci_u32_e64 v18, null, s28, v5, vcc_lo
	s_mov_b64 s[10:11], s[4:5]
	s_branch .LBB13_14
.LBB13_12:                              ;   in Loop: Header=BB13_14 Depth=2
	s_inst_prefetch 0x2
	s_or_b32 exec_lo, exec_lo, s31
.LBB13_13:                              ;   in Loop: Header=BB13_14 Depth=2
	s_or_b32 exec_lo, exec_lo, s30
	s_add_u32 s10, s10, 1
	s_addc_u32 s11, s11, 0
	v_add_co_u32 v17, vcc_lo, v17, s24
	v_cmp_ge_i64_e64 s30, s[10:11], s[6:7]
	v_add_co_ci_u32_e64 v18, null, s19, v18, vcc_lo
	s_and_b32 vcc_lo, exec_lo, s30
	s_cbranch_vccnz .LBB13_21
.LBB13_14:                              ;   Parent Loop BB13_10 Depth=1
                                        ; =>  This Loop Header: Depth=2
                                        ;       Child Loop BB13_17 Depth 3
	s_and_saveexec_b32 s30, s0
	s_cbranch_execz .LBB13_13
; %bb.15:                               ;   in Loop: Header=BB13_14 Depth=2
	s_lshl_b64 s[34:35], s[10:11], 2
	v_mad_u64_u32 v[5:6], null, s24, s10, v[1:2]
	s_add_u32 s34, s12, s34
	s_addc_u32 s35, s13, s35
	s_mul_i32 s33, s19, s10
	s_load_dword s31, s[34:35], 0x0
	s_mul_i32 s34, s24, s11
	v_mov_b32_e32 v8, v4
	v_mov_b32_e32 v19, v11
	;; [unrolled: 1-line block ×3, first 2 shown]
	v_add3_u32 v6, s34, s33, v6
	s_waitcnt lgkmcnt(0)
	s_sub_i32 s31, s31, s2
	s_mul_i32 s33, s31, s3
	s_mov_b32 s31, 0
	s_inst_prefetch 0x1
	s_branch .LBB13_17
	.p2align	6
.LBB13_16:                              ;   in Loop: Header=BB13_17 Depth=3
	v_add_nc_u32_e32 v20, s33, v7
	v_lshlrev_b64 v[9:10], 2, v[9:10]
	v_add_nc_u32_e32 v19, s29, v19
	v_ashrrev_i32_e32 v21, 31, v20
	v_add_co_u32 v9, vcc_lo, s14, v9
	v_add_co_ci_u32_e64 v10, null, s15, v10, vcc_lo
	v_lshlrev_b64 v[20:21], 2, v[20:21]
	v_add_co_u32 v20, vcc_lo, s20, v20
	v_add_co_ci_u32_e64 v21, null, s21, v21, vcc_lo
	v_add_co_u32 v7, vcc_lo, v7, 16
	global_load_dword v9, v[9:10], off
	global_load_dword v10, v[20:21], off
	v_add_co_ci_u32_e64 v8, null, 0, v8, vcc_lo
	v_cmp_le_i32_e32 vcc_lo, s3, v7
	s_or_b32 s31, vcc_lo, s31
	s_waitcnt vmcnt(0)
	v_fmac_f32_e32 v16, v9, v10
	s_andn2_b32 exec_lo, exec_lo, s31
	s_cbranch_execz .LBB13_12
.LBB13_17:                              ;   Parent Loop BB13_10 Depth=1
                                        ;     Parent Loop BB13_14 Depth=2
                                        ; =>    This Inner Loop Header: Depth=3
	s_and_b32 vcc_lo, exec_lo, s23
	s_cbranch_vccz .LBB13_19
; %bb.18:                               ;   in Loop: Header=BB13_17 Depth=3
	v_ashrrev_i32_e32 v10, 31, v19
	v_add_co_u32 v9, vcc_lo, v5, v19
	v_add_co_ci_u32_e64 v10, null, v6, v10, vcc_lo
	s_cbranch_execnz .LBB13_16
	s_branch .LBB13_20
.LBB13_19:                              ;   in Loop: Header=BB13_17 Depth=3
                                        ; implicit-def: $vgpr9_vgpr10
.LBB13_20:                              ;   in Loop: Header=BB13_17 Depth=3
	v_add_co_u32 v9, vcc_lo, v17, v7
	v_add_co_ci_u32_e64 v10, null, v18, v8, vcc_lo
	s_branch .LBB13_16
.LBB13_21:                              ;   in Loop: Header=BB13_10 Depth=1
	ds_bpermute_b32 v2, v12, v16
	s_waitcnt lgkmcnt(0)
	v_add_f32_e32 v2, v16, v2
	ds_bpermute_b32 v5, v13, v2
	s_waitcnt lgkmcnt(0)
	v_add_f32_e32 v2, v2, v5
	;; [unrolled: 3-line block ×3, first 2 shown]
	ds_bpermute_b32 v5, v15, v2
	s_and_saveexec_b32 s10, s1
	s_cbranch_execz .LBB13_9
; %bb.22:                               ;   in Loop: Header=BB13_10 Depth=1
	s_waitcnt lgkmcnt(0)
	v_add_f32_e32 v2, v2, v5
	v_add_nc_u32_e32 v5, s26, v1
	s_and_b32 vcc_lo, exec_lo, s25
	v_mul_f32_e32 v2, s16, v2
	v_ashrrev_i32_e32 v6, 31, v5
	s_cbranch_vccz .LBB13_24
; %bb.23:                               ;   in Loop: Header=BB13_10 Depth=1
	v_lshlrev_b64 v[7:8], 2, v[5:6]
	v_add_co_u32 v7, vcc_lo, s8, v7
	v_add_co_ci_u32_e64 v8, null, s9, v8, vcc_lo
	global_store_dword v[7:8], v2, off
	s_cbranch_execnz .LBB13_9
	s_branch .LBB13_25
.LBB13_24:                              ;   in Loop: Header=BB13_10 Depth=1
.LBB13_25:                              ;   in Loop: Header=BB13_10 Depth=1
	v_lshlrev_b64 v[5:6], 2, v[5:6]
	v_add_co_u32 v5, vcc_lo, s8, v5
	v_add_co_ci_u32_e64 v6, null, s9, v6, vcc_lo
	global_load_dword v7, v[5:6], off
	s_waitcnt vmcnt(0)
	v_fmac_f32_e32 v2, s18, v7
	global_store_dword v[5:6], v2, off
	s_branch .LBB13_9
.LBB13_26:
	s_endpgm
	.section	.rodata,"a",@progbits
	.p2align	6, 0x0
	.amdhsa_kernel _ZN9rocsparseL22bsrxmvn_general_kernelILj256ELj16EflifffEEv20rocsparse_direction_NS_24const_host_device_scalarIT1_EET3_PKS5_PKT2_SA_S7_PKT4_S5_PKT5_S4_PT6_21rocsparse_index_base_b
		.amdhsa_group_segment_fixed_size 0
		.amdhsa_private_segment_fixed_size 0
		.amdhsa_kernarg_size 104
		.amdhsa_user_sgpr_count 6
		.amdhsa_user_sgpr_private_segment_buffer 1
		.amdhsa_user_sgpr_dispatch_ptr 0
		.amdhsa_user_sgpr_queue_ptr 0
		.amdhsa_user_sgpr_kernarg_segment_ptr 1
		.amdhsa_user_sgpr_dispatch_id 0
		.amdhsa_user_sgpr_flat_scratch_init 0
		.amdhsa_user_sgpr_private_segment_size 0
		.amdhsa_wavefront_size32 1
		.amdhsa_uses_dynamic_stack 0
		.amdhsa_system_sgpr_private_segment_wavefront_offset 0
		.amdhsa_system_sgpr_workgroup_id_x 1
		.amdhsa_system_sgpr_workgroup_id_y 0
		.amdhsa_system_sgpr_workgroup_id_z 0
		.amdhsa_system_sgpr_workgroup_info 0
		.amdhsa_system_vgpr_workitem_id 0
		.amdhsa_next_free_vgpr 22
		.amdhsa_next_free_sgpr 36
		.amdhsa_reserve_vcc 1
		.amdhsa_reserve_flat_scratch 0
		.amdhsa_float_round_mode_32 0
		.amdhsa_float_round_mode_16_64 0
		.amdhsa_float_denorm_mode_32 3
		.amdhsa_float_denorm_mode_16_64 3
		.amdhsa_dx10_clamp 1
		.amdhsa_ieee_mode 1
		.amdhsa_fp16_overflow 0
		.amdhsa_workgroup_processor_mode 1
		.amdhsa_memory_ordered 1
		.amdhsa_forward_progress 1
		.amdhsa_shared_vgpr_count 0
		.amdhsa_exception_fp_ieee_invalid_op 0
		.amdhsa_exception_fp_denorm_src 0
		.amdhsa_exception_fp_ieee_div_zero 0
		.amdhsa_exception_fp_ieee_overflow 0
		.amdhsa_exception_fp_ieee_underflow 0
		.amdhsa_exception_fp_ieee_inexact 0
		.amdhsa_exception_int_div_zero 0
	.end_amdhsa_kernel
	.section	.text._ZN9rocsparseL22bsrxmvn_general_kernelILj256ELj16EflifffEEv20rocsparse_direction_NS_24const_host_device_scalarIT1_EET3_PKS5_PKT2_SA_S7_PKT4_S5_PKT5_S4_PT6_21rocsparse_index_base_b,"axG",@progbits,_ZN9rocsparseL22bsrxmvn_general_kernelILj256ELj16EflifffEEv20rocsparse_direction_NS_24const_host_device_scalarIT1_EET3_PKS5_PKT2_SA_S7_PKT4_S5_PKT5_S4_PT6_21rocsparse_index_base_b,comdat
.Lfunc_end13:
	.size	_ZN9rocsparseL22bsrxmvn_general_kernelILj256ELj16EflifffEEv20rocsparse_direction_NS_24const_host_device_scalarIT1_EET3_PKS5_PKT2_SA_S7_PKT4_S5_PKT5_S4_PT6_21rocsparse_index_base_b, .Lfunc_end13-_ZN9rocsparseL22bsrxmvn_general_kernelILj256ELj16EflifffEEv20rocsparse_direction_NS_24const_host_device_scalarIT1_EET3_PKS5_PKT2_SA_S7_PKT4_S5_PKT5_S4_PT6_21rocsparse_index_base_b
                                        ; -- End function
	.set _ZN9rocsparseL22bsrxmvn_general_kernelILj256ELj16EflifffEEv20rocsparse_direction_NS_24const_host_device_scalarIT1_EET3_PKS5_PKT2_SA_S7_PKT4_S5_PKT5_S4_PT6_21rocsparse_index_base_b.num_vgpr, 22
	.set _ZN9rocsparseL22bsrxmvn_general_kernelILj256ELj16EflifffEEv20rocsparse_direction_NS_24const_host_device_scalarIT1_EET3_PKS5_PKT2_SA_S7_PKT4_S5_PKT5_S4_PT6_21rocsparse_index_base_b.num_agpr, 0
	.set _ZN9rocsparseL22bsrxmvn_general_kernelILj256ELj16EflifffEEv20rocsparse_direction_NS_24const_host_device_scalarIT1_EET3_PKS5_PKT2_SA_S7_PKT4_S5_PKT5_S4_PT6_21rocsparse_index_base_b.numbered_sgpr, 36
	.set _ZN9rocsparseL22bsrxmvn_general_kernelILj256ELj16EflifffEEv20rocsparse_direction_NS_24const_host_device_scalarIT1_EET3_PKS5_PKT2_SA_S7_PKT4_S5_PKT5_S4_PT6_21rocsparse_index_base_b.num_named_barrier, 0
	.set _ZN9rocsparseL22bsrxmvn_general_kernelILj256ELj16EflifffEEv20rocsparse_direction_NS_24const_host_device_scalarIT1_EET3_PKS5_PKT2_SA_S7_PKT4_S5_PKT5_S4_PT6_21rocsparse_index_base_b.private_seg_size, 0
	.set _ZN9rocsparseL22bsrxmvn_general_kernelILj256ELj16EflifffEEv20rocsparse_direction_NS_24const_host_device_scalarIT1_EET3_PKS5_PKT2_SA_S7_PKT4_S5_PKT5_S4_PT6_21rocsparse_index_base_b.uses_vcc, 1
	.set _ZN9rocsparseL22bsrxmvn_general_kernelILj256ELj16EflifffEEv20rocsparse_direction_NS_24const_host_device_scalarIT1_EET3_PKS5_PKT2_SA_S7_PKT4_S5_PKT5_S4_PT6_21rocsparse_index_base_b.uses_flat_scratch, 0
	.set _ZN9rocsparseL22bsrxmvn_general_kernelILj256ELj16EflifffEEv20rocsparse_direction_NS_24const_host_device_scalarIT1_EET3_PKS5_PKT2_SA_S7_PKT4_S5_PKT5_S4_PT6_21rocsparse_index_base_b.has_dyn_sized_stack, 0
	.set _ZN9rocsparseL22bsrxmvn_general_kernelILj256ELj16EflifffEEv20rocsparse_direction_NS_24const_host_device_scalarIT1_EET3_PKS5_PKT2_SA_S7_PKT4_S5_PKT5_S4_PT6_21rocsparse_index_base_b.has_recursion, 0
	.set _ZN9rocsparseL22bsrxmvn_general_kernelILj256ELj16EflifffEEv20rocsparse_direction_NS_24const_host_device_scalarIT1_EET3_PKS5_PKT2_SA_S7_PKT4_S5_PKT5_S4_PT6_21rocsparse_index_base_b.has_indirect_call, 0
	.section	.AMDGPU.csdata,"",@progbits
; Kernel info:
; codeLenInByte = 1128
; TotalNumSgprs: 38
; NumVgprs: 22
; ScratchSize: 0
; MemoryBound: 0
; FloatMode: 240
; IeeeMode: 1
; LDSByteSize: 0 bytes/workgroup (compile time only)
; SGPRBlocks: 0
; VGPRBlocks: 2
; NumSGPRsForWavesPerEU: 38
; NumVGPRsForWavesPerEU: 22
; Occupancy: 16
; WaveLimiterHint : 1
; COMPUTE_PGM_RSRC2:SCRATCH_EN: 0
; COMPUTE_PGM_RSRC2:USER_SGPR: 6
; COMPUTE_PGM_RSRC2:TRAP_HANDLER: 0
; COMPUTE_PGM_RSRC2:TGID_X_EN: 1
; COMPUTE_PGM_RSRC2:TGID_Y_EN: 0
; COMPUTE_PGM_RSRC2:TGID_Z_EN: 0
; COMPUTE_PGM_RSRC2:TIDIG_COMP_CNT: 0
	.section	.text._ZN9rocsparseL22bsrxmvn_general_kernelILj1024ELj32EflifffEEv20rocsparse_direction_NS_24const_host_device_scalarIT1_EET3_PKS5_PKT2_SA_S7_PKT4_S5_PKT5_S4_PT6_21rocsparse_index_base_b,"axG",@progbits,_ZN9rocsparseL22bsrxmvn_general_kernelILj1024ELj32EflifffEEv20rocsparse_direction_NS_24const_host_device_scalarIT1_EET3_PKS5_PKT2_SA_S7_PKT4_S5_PKT5_S4_PT6_21rocsparse_index_base_b,comdat
	.globl	_ZN9rocsparseL22bsrxmvn_general_kernelILj1024ELj32EflifffEEv20rocsparse_direction_NS_24const_host_device_scalarIT1_EET3_PKS5_PKT2_SA_S7_PKT4_S5_PKT5_S4_PT6_21rocsparse_index_base_b ; -- Begin function _ZN9rocsparseL22bsrxmvn_general_kernelILj1024ELj32EflifffEEv20rocsparse_direction_NS_24const_host_device_scalarIT1_EET3_PKS5_PKT2_SA_S7_PKT4_S5_PKT5_S4_PT6_21rocsparse_index_base_b
	.p2align	8
	.type	_ZN9rocsparseL22bsrxmvn_general_kernelILj1024ELj32EflifffEEv20rocsparse_direction_NS_24const_host_device_scalarIT1_EET3_PKS5_PKT2_SA_S7_PKT4_S5_PKT5_S4_PT6_21rocsparse_index_base_b,@function
_ZN9rocsparseL22bsrxmvn_general_kernelILj1024ELj32EflifffEEv20rocsparse_direction_NS_24const_host_device_scalarIT1_EET3_PKS5_PKT2_SA_S7_PKT4_S5_PKT5_S4_PT6_21rocsparse_index_base_b: ; @_ZN9rocsparseL22bsrxmvn_general_kernelILj1024ELj32EflifffEEv20rocsparse_direction_NS_24const_host_device_scalarIT1_EET3_PKS5_PKT2_SA_S7_PKT4_S5_PKT5_S4_PT6_21rocsparse_index_base_b
; %bb.0:
	s_clause 0x2
	s_load_dwordx2 s[2:3], s[4:5], 0x60
	s_load_dwordx2 s[16:17], s[4:5], 0x8
	;; [unrolled: 1-line block ×3, first 2 shown]
	s_waitcnt lgkmcnt(0)
	s_bitcmp1_b32 s3, 0
	s_cselect_b32 s0, -1, 0
	s_and_b32 vcc_lo, exec_lo, s0
	s_xor_b32 s0, s0, -1
	s_cbranch_vccnz .LBB14_2
; %bb.1:
	s_load_dword s16, s[16:17], 0x0
.LBB14_2:
	s_andn2_b32 vcc_lo, exec_lo, s0
	s_cbranch_vccnz .LBB14_4
; %bb.3:
	s_load_dword s18, s[18:19], 0x0
.LBB14_4:
	s_waitcnt lgkmcnt(0)
	v_cmp_neq_f32_e64 s0, s16, 0
	v_cmp_neq_f32_e64 s1, s18, 1.0
	s_or_b32 s0, s0, s1
	s_andn2_b32 vcc_lo, exec_lo, s0
	s_cbranch_vccnz .LBB14_26
; %bb.5:
	s_load_dwordx2 s[0:1], s[4:5], 0x18
	s_waitcnt lgkmcnt(0)
	s_cmp_eq_u64 s[0:1], 0
	s_cbranch_scc1 .LBB14_7
; %bb.6:
	s_ashr_i32 s7, s6, 31
	s_lshl_b64 s[6:7], s[6:7], 2
	s_add_u32 s0, s0, s6
	s_addc_u32 s1, s1, s7
	s_load_dword s0, s[0:1], 0x0
	s_waitcnt lgkmcnt(0)
	s_sub_i32 s6, s0, s2
.LBB14_7:
	s_load_dword s3, s[4:5], 0x40
	v_lshrrev_b32_e32 v1, 5, v0
	s_mov_b32 s0, exec_lo
	s_waitcnt lgkmcnt(0)
	v_cmpx_gt_i32_e64 s3, v1
	s_cbranch_execz .LBB14_26
; %bb.8:
	s_load_dwordx8 s[8:15], s[4:5], 0x20
	s_ashr_i32 s7, s6, 31
	v_mbcnt_lo_u32_b32 v5, -1, 0
	s_lshl_b64 s[28:29], s[6:7], 3
	s_load_dword s27, s[4:5], 0x0
	s_mul_i32 s26, s6, s3
	v_and_b32_e32 v3, 31, v0
	v_xor_b32_e32 v6, 16, v5
	v_xor_b32_e32 v7, 8, v5
	;; [unrolled: 1-line block ×5, first 2 shown]
	v_cmp_gt_i32_e32 vcc_lo, 32, v6
	v_mov_b32_e32 v2, 0
	s_mul_hi_u32 s19, s3, s3
	s_mul_i32 s24, s3, s3
	v_mul_lo_u32 v0, s3, v1
	v_cndmask_b32_e32 v6, v5, v6, vcc_lo
	v_cmp_gt_i32_e32 vcc_lo, 32, v7
	v_mul_lo_u32 v11, s3, v3
	s_waitcnt lgkmcnt(0)
	s_add_u32 s30, s8, s28
	s_addc_u32 s31, s9, s29
	v_cmp_eq_f32_e64 s25, s18, 0
	s_load_dwordx2 s[22:23], s[30:31], 0x0
	s_clause 0x1
	s_load_dwordx2 s[8:9], s[4:5], 0x58
	s_load_dwordx2 s[20:21], s[4:5], 0x48
	v_cndmask_b32_e32 v7, v5, v7, vcc_lo
	v_cmp_gt_i32_e32 vcc_lo, 32, v8
	v_cmp_gt_u32_e64 s0, s3, v3
	v_cmp_eq_u32_e64 s1, 31, v3
	v_mov_b32_e32 v4, v2
	v_lshlrev_b32_e32 v12, 2, v6
	v_cndmask_b32_e32 v8, v5, v8, vcc_lo
	v_cmp_gt_i32_e32 vcc_lo, 32, v9
	v_lshlrev_b32_e32 v13, 2, v7
	s_mov_b32 s17, 0
	v_lshlrev_b32_e32 v14, 2, v8
	v_cndmask_b32_e32 v9, v5, v9, vcc_lo
	v_cmp_gt_i32_e32 vcc_lo, 32, v10
	v_lshlrev_b32_e32 v15, 2, v9
	s_waitcnt lgkmcnt(0)
	s_sub_u32 s4, s22, s2
	s_subb_u32 s5, s23, 0
	s_add_u32 s6, s30, 8
	s_addc_u32 s7, s31, 0
	s_add_u32 s28, s10, s28
	s_addc_u32 s29, s11, s29
	s_cmp_eq_u64 s[10:11], 0
	v_cndmask_b32_e32 v5, v5, v10, vcc_lo
	s_cselect_b32 s7, s7, s29
	s_cselect_b32 s6, s6, s28
	s_mul_i32 s28, s4, s19
	s_load_dwordx2 s[10:11], s[6:7], 0x0
	s_mul_hi_u32 s29, s4, s24
	v_lshlrev_b32_e32 v16, 2, v5
	s_mul_i32 s30, s5, s24
	s_waitcnt lgkmcnt(0)
	s_sub_u32 s6, s10, s2
	s_subb_u32 s7, s11, 0
	s_cmp_lg_u32 s27, 0
	v_cmp_lt_i64_e64 s22, s[22:23], s[10:11]
	s_cselect_b32 s23, -1, 0
	s_add_i32 s10, s29, s28
	s_mul_i32 s27, s4, s24
	s_add_i32 s28, s10, s30
	s_lshl_b32 s29, s3, 5
	s_branch .LBB14_10
.LBB14_9:                               ;   in Loop: Header=BB14_10 Depth=1
	s_or_b32 exec_lo, exec_lo, s10
	v_add_nc_u32_e32 v1, 32, v1
	v_add_nc_u32_e32 v0, s29, v0
	v_cmp_le_i32_e32 vcc_lo, s3, v1
	s_or_b32 s17, vcc_lo, s17
	s_andn2_b32 exec_lo, exec_lo, s17
	s_cbranch_execz .LBB14_26
.LBB14_10:                              ; =>This Loop Header: Depth=1
                                        ;     Child Loop BB14_14 Depth 2
                                        ;       Child Loop BB14_17 Depth 3
	v_mov_b32_e32 v17, 0
	s_andn2_b32 vcc_lo, exec_lo, s22
	s_cbranch_vccnz .LBB14_21
; %bb.11:                               ;   in Loop: Header=BB14_10 Depth=1
	v_ashrrev_i32_e32 v5, 31, v0
	v_add_co_u32 v18, vcc_lo, s27, v0
	v_mov_b32_e32 v17, 0
	s_mov_b64 s[10:11], s[4:5]
	v_add_co_ci_u32_e64 v19, null, s28, v5, vcc_lo
	s_branch .LBB14_14
.LBB14_12:                              ;   in Loop: Header=BB14_14 Depth=2
	s_inst_prefetch 0x2
	s_or_b32 exec_lo, exec_lo, s31
.LBB14_13:                              ;   in Loop: Header=BB14_14 Depth=2
	s_or_b32 exec_lo, exec_lo, s30
	s_add_u32 s10, s10, 1
	s_addc_u32 s11, s11, 0
	v_add_co_u32 v18, vcc_lo, v18, s24
	v_cmp_ge_i64_e64 s30, s[10:11], s[6:7]
	v_add_co_ci_u32_e64 v19, null, s19, v19, vcc_lo
	s_and_b32 vcc_lo, exec_lo, s30
	s_cbranch_vccnz .LBB14_21
.LBB14_14:                              ;   Parent Loop BB14_10 Depth=1
                                        ; =>  This Loop Header: Depth=2
                                        ;       Child Loop BB14_17 Depth 3
	s_and_saveexec_b32 s30, s0
	s_cbranch_execz .LBB14_13
; %bb.15:                               ;   in Loop: Header=BB14_14 Depth=2
	s_lshl_b64 s[34:35], s[10:11], 2
	s_waitcnt lgkmcnt(0)
	v_mad_u64_u32 v[5:6], null, s24, s10, v[1:2]
	s_add_u32 s34, s12, s34
	s_addc_u32 s35, s13, s35
	s_mul_i32 s33, s19, s10
	s_load_dword s31, s[34:35], 0x0
	s_mul_i32 s34, s24, s11
	v_mov_b32_e32 v8, v4
	v_mov_b32_e32 v20, v11
	;; [unrolled: 1-line block ×3, first 2 shown]
	v_add3_u32 v6, s34, s33, v6
	s_waitcnt lgkmcnt(0)
	s_sub_i32 s31, s31, s2
	s_mul_i32 s33, s31, s3
	s_mov_b32 s31, 0
	s_inst_prefetch 0x1
	s_branch .LBB14_17
	.p2align	6
.LBB14_16:                              ;   in Loop: Header=BB14_17 Depth=3
	v_add_nc_u32_e32 v21, s33, v7
	v_lshlrev_b64 v[9:10], 2, v[9:10]
	v_add_nc_u32_e32 v20, s29, v20
	v_ashrrev_i32_e32 v22, 31, v21
	v_add_co_u32 v9, vcc_lo, s14, v9
	v_add_co_ci_u32_e64 v10, null, s15, v10, vcc_lo
	v_lshlrev_b64 v[21:22], 2, v[21:22]
	v_add_co_u32 v21, vcc_lo, s20, v21
	v_add_co_ci_u32_e64 v22, null, s21, v22, vcc_lo
	v_add_co_u32 v7, vcc_lo, v7, 32
	global_load_dword v9, v[9:10], off
	global_load_dword v10, v[21:22], off
	v_add_co_ci_u32_e64 v8, null, 0, v8, vcc_lo
	v_cmp_le_i32_e32 vcc_lo, s3, v7
	s_or_b32 s31, vcc_lo, s31
	s_waitcnt vmcnt(0)
	v_fmac_f32_e32 v17, v9, v10
	s_andn2_b32 exec_lo, exec_lo, s31
	s_cbranch_execz .LBB14_12
.LBB14_17:                              ;   Parent Loop BB14_10 Depth=1
                                        ;     Parent Loop BB14_14 Depth=2
                                        ; =>    This Inner Loop Header: Depth=3
	s_and_b32 vcc_lo, exec_lo, s23
	s_cbranch_vccz .LBB14_19
; %bb.18:                               ;   in Loop: Header=BB14_17 Depth=3
	v_ashrrev_i32_e32 v10, 31, v20
	v_add_co_u32 v9, vcc_lo, v5, v20
	v_add_co_ci_u32_e64 v10, null, v6, v10, vcc_lo
	s_cbranch_execnz .LBB14_16
	s_branch .LBB14_20
.LBB14_19:                              ;   in Loop: Header=BB14_17 Depth=3
                                        ; implicit-def: $vgpr9_vgpr10
.LBB14_20:                              ;   in Loop: Header=BB14_17 Depth=3
	v_add_co_u32 v9, vcc_lo, v18, v7
	v_add_co_ci_u32_e64 v10, null, v19, v8, vcc_lo
	s_branch .LBB14_16
.LBB14_21:                              ;   in Loop: Header=BB14_10 Depth=1
	ds_bpermute_b32 v5, v12, v17
	s_waitcnt lgkmcnt(0)
	v_add_f32_e32 v5, v17, v5
	ds_bpermute_b32 v6, v13, v5
	s_waitcnt lgkmcnt(0)
	v_add_f32_e32 v5, v5, v6
	;; [unrolled: 3-line block ×4, first 2 shown]
	ds_bpermute_b32 v6, v16, v5
	s_and_saveexec_b32 s10, s1
	s_cbranch_execz .LBB14_9
; %bb.22:                               ;   in Loop: Header=BB14_10 Depth=1
	s_waitcnt lgkmcnt(0)
	v_add_f32_e32 v6, v5, v6
	v_add_nc_u32_e32 v5, s26, v1
	s_and_b32 vcc_lo, exec_lo, s25
	v_mul_f32_e32 v7, s16, v6
	v_ashrrev_i32_e32 v6, 31, v5
	s_cbranch_vccz .LBB14_24
; %bb.23:                               ;   in Loop: Header=BB14_10 Depth=1
	v_lshlrev_b64 v[8:9], 2, v[5:6]
	v_add_co_u32 v8, vcc_lo, s8, v8
	v_add_co_ci_u32_e64 v9, null, s9, v9, vcc_lo
	global_store_dword v[8:9], v7, off
	s_cbranch_execnz .LBB14_9
	s_branch .LBB14_25
.LBB14_24:                              ;   in Loop: Header=BB14_10 Depth=1
.LBB14_25:                              ;   in Loop: Header=BB14_10 Depth=1
	v_lshlrev_b64 v[5:6], 2, v[5:6]
	v_add_co_u32 v5, vcc_lo, s8, v5
	v_add_co_ci_u32_e64 v6, null, s9, v6, vcc_lo
	global_load_dword v8, v[5:6], off
	s_waitcnt vmcnt(0)
	v_fmac_f32_e32 v7, s18, v8
	global_store_dword v[5:6], v7, off
	s_branch .LBB14_9
.LBB14_26:
	s_endpgm
	.section	.rodata,"a",@progbits
	.p2align	6, 0x0
	.amdhsa_kernel _ZN9rocsparseL22bsrxmvn_general_kernelILj1024ELj32EflifffEEv20rocsparse_direction_NS_24const_host_device_scalarIT1_EET3_PKS5_PKT2_SA_S7_PKT4_S5_PKT5_S4_PT6_21rocsparse_index_base_b
		.amdhsa_group_segment_fixed_size 0
		.amdhsa_private_segment_fixed_size 0
		.amdhsa_kernarg_size 104
		.amdhsa_user_sgpr_count 6
		.amdhsa_user_sgpr_private_segment_buffer 1
		.amdhsa_user_sgpr_dispatch_ptr 0
		.amdhsa_user_sgpr_queue_ptr 0
		.amdhsa_user_sgpr_kernarg_segment_ptr 1
		.amdhsa_user_sgpr_dispatch_id 0
		.amdhsa_user_sgpr_flat_scratch_init 0
		.amdhsa_user_sgpr_private_segment_size 0
		.amdhsa_wavefront_size32 1
		.amdhsa_uses_dynamic_stack 0
		.amdhsa_system_sgpr_private_segment_wavefront_offset 0
		.amdhsa_system_sgpr_workgroup_id_x 1
		.amdhsa_system_sgpr_workgroup_id_y 0
		.amdhsa_system_sgpr_workgroup_id_z 0
		.amdhsa_system_sgpr_workgroup_info 0
		.amdhsa_system_vgpr_workitem_id 0
		.amdhsa_next_free_vgpr 23
		.amdhsa_next_free_sgpr 36
		.amdhsa_reserve_vcc 1
		.amdhsa_reserve_flat_scratch 0
		.amdhsa_float_round_mode_32 0
		.amdhsa_float_round_mode_16_64 0
		.amdhsa_float_denorm_mode_32 3
		.amdhsa_float_denorm_mode_16_64 3
		.amdhsa_dx10_clamp 1
		.amdhsa_ieee_mode 1
		.amdhsa_fp16_overflow 0
		.amdhsa_workgroup_processor_mode 1
		.amdhsa_memory_ordered 1
		.amdhsa_forward_progress 1
		.amdhsa_shared_vgpr_count 0
		.amdhsa_exception_fp_ieee_invalid_op 0
		.amdhsa_exception_fp_denorm_src 0
		.amdhsa_exception_fp_ieee_div_zero 0
		.amdhsa_exception_fp_ieee_overflow 0
		.amdhsa_exception_fp_ieee_underflow 0
		.amdhsa_exception_fp_ieee_inexact 0
		.amdhsa_exception_int_div_zero 0
	.end_amdhsa_kernel
	.section	.text._ZN9rocsparseL22bsrxmvn_general_kernelILj1024ELj32EflifffEEv20rocsparse_direction_NS_24const_host_device_scalarIT1_EET3_PKS5_PKT2_SA_S7_PKT4_S5_PKT5_S4_PT6_21rocsparse_index_base_b,"axG",@progbits,_ZN9rocsparseL22bsrxmvn_general_kernelILj1024ELj32EflifffEEv20rocsparse_direction_NS_24const_host_device_scalarIT1_EET3_PKS5_PKT2_SA_S7_PKT4_S5_PKT5_S4_PT6_21rocsparse_index_base_b,comdat
.Lfunc_end14:
	.size	_ZN9rocsparseL22bsrxmvn_general_kernelILj1024ELj32EflifffEEv20rocsparse_direction_NS_24const_host_device_scalarIT1_EET3_PKS5_PKT2_SA_S7_PKT4_S5_PKT5_S4_PT6_21rocsparse_index_base_b, .Lfunc_end14-_ZN9rocsparseL22bsrxmvn_general_kernelILj1024ELj32EflifffEEv20rocsparse_direction_NS_24const_host_device_scalarIT1_EET3_PKS5_PKT2_SA_S7_PKT4_S5_PKT5_S4_PT6_21rocsparse_index_base_b
                                        ; -- End function
	.set _ZN9rocsparseL22bsrxmvn_general_kernelILj1024ELj32EflifffEEv20rocsparse_direction_NS_24const_host_device_scalarIT1_EET3_PKS5_PKT2_SA_S7_PKT4_S5_PKT5_S4_PT6_21rocsparse_index_base_b.num_vgpr, 23
	.set _ZN9rocsparseL22bsrxmvn_general_kernelILj1024ELj32EflifffEEv20rocsparse_direction_NS_24const_host_device_scalarIT1_EET3_PKS5_PKT2_SA_S7_PKT4_S5_PKT5_S4_PT6_21rocsparse_index_base_b.num_agpr, 0
	.set _ZN9rocsparseL22bsrxmvn_general_kernelILj1024ELj32EflifffEEv20rocsparse_direction_NS_24const_host_device_scalarIT1_EET3_PKS5_PKT2_SA_S7_PKT4_S5_PKT5_S4_PT6_21rocsparse_index_base_b.numbered_sgpr, 36
	.set _ZN9rocsparseL22bsrxmvn_general_kernelILj1024ELj32EflifffEEv20rocsparse_direction_NS_24const_host_device_scalarIT1_EET3_PKS5_PKT2_SA_S7_PKT4_S5_PKT5_S4_PT6_21rocsparse_index_base_b.num_named_barrier, 0
	.set _ZN9rocsparseL22bsrxmvn_general_kernelILj1024ELj32EflifffEEv20rocsparse_direction_NS_24const_host_device_scalarIT1_EET3_PKS5_PKT2_SA_S7_PKT4_S5_PKT5_S4_PT6_21rocsparse_index_base_b.private_seg_size, 0
	.set _ZN9rocsparseL22bsrxmvn_general_kernelILj1024ELj32EflifffEEv20rocsparse_direction_NS_24const_host_device_scalarIT1_EET3_PKS5_PKT2_SA_S7_PKT4_S5_PKT5_S4_PT6_21rocsparse_index_base_b.uses_vcc, 1
	.set _ZN9rocsparseL22bsrxmvn_general_kernelILj1024ELj32EflifffEEv20rocsparse_direction_NS_24const_host_device_scalarIT1_EET3_PKS5_PKT2_SA_S7_PKT4_S5_PKT5_S4_PT6_21rocsparse_index_base_b.uses_flat_scratch, 0
	.set _ZN9rocsparseL22bsrxmvn_general_kernelILj1024ELj32EflifffEEv20rocsparse_direction_NS_24const_host_device_scalarIT1_EET3_PKS5_PKT2_SA_S7_PKT4_S5_PKT5_S4_PT6_21rocsparse_index_base_b.has_dyn_sized_stack, 0
	.set _ZN9rocsparseL22bsrxmvn_general_kernelILj1024ELj32EflifffEEv20rocsparse_direction_NS_24const_host_device_scalarIT1_EET3_PKS5_PKT2_SA_S7_PKT4_S5_PKT5_S4_PT6_21rocsparse_index_base_b.has_recursion, 0
	.set _ZN9rocsparseL22bsrxmvn_general_kernelILj1024ELj32EflifffEEv20rocsparse_direction_NS_24const_host_device_scalarIT1_EET3_PKS5_PKT2_SA_S7_PKT4_S5_PKT5_S4_PT6_21rocsparse_index_base_b.has_indirect_call, 0
	.section	.AMDGPU.csdata,"",@progbits
; Kernel info:
; codeLenInByte = 1144
; TotalNumSgprs: 38
; NumVgprs: 23
; ScratchSize: 0
; MemoryBound: 0
; FloatMode: 240
; IeeeMode: 1
; LDSByteSize: 0 bytes/workgroup (compile time only)
; SGPRBlocks: 0
; VGPRBlocks: 2
; NumSGPRsForWavesPerEU: 38
; NumVGPRsForWavesPerEU: 23
; Occupancy: 16
; WaveLimiterHint : 1
; COMPUTE_PGM_RSRC2:SCRATCH_EN: 0
; COMPUTE_PGM_RSRC2:USER_SGPR: 6
; COMPUTE_PGM_RSRC2:TRAP_HANDLER: 0
; COMPUTE_PGM_RSRC2:TGID_X_EN: 1
; COMPUTE_PGM_RSRC2:TGID_Y_EN: 0
; COMPUTE_PGM_RSRC2:TGID_Z_EN: 0
; COMPUTE_PGM_RSRC2:TIDIG_COMP_CNT: 0
	.section	.text._ZN9rocsparseL22bsrxmvn_general_kernelILj64ELj8EdlidddEEv20rocsparse_direction_NS_24const_host_device_scalarIT1_EET3_PKS5_PKT2_SA_S7_PKT4_S5_PKT5_S4_PT6_21rocsparse_index_base_b,"axG",@progbits,_ZN9rocsparseL22bsrxmvn_general_kernelILj64ELj8EdlidddEEv20rocsparse_direction_NS_24const_host_device_scalarIT1_EET3_PKS5_PKT2_SA_S7_PKT4_S5_PKT5_S4_PT6_21rocsparse_index_base_b,comdat
	.globl	_ZN9rocsparseL22bsrxmvn_general_kernelILj64ELj8EdlidddEEv20rocsparse_direction_NS_24const_host_device_scalarIT1_EET3_PKS5_PKT2_SA_S7_PKT4_S5_PKT5_S4_PT6_21rocsparse_index_base_b ; -- Begin function _ZN9rocsparseL22bsrxmvn_general_kernelILj64ELj8EdlidddEEv20rocsparse_direction_NS_24const_host_device_scalarIT1_EET3_PKS5_PKT2_SA_S7_PKT4_S5_PKT5_S4_PT6_21rocsparse_index_base_b
	.p2align	8
	.type	_ZN9rocsparseL22bsrxmvn_general_kernelILj64ELj8EdlidddEEv20rocsparse_direction_NS_24const_host_device_scalarIT1_EET3_PKS5_PKT2_SA_S7_PKT4_S5_PKT5_S4_PT6_21rocsparse_index_base_b,@function
_ZN9rocsparseL22bsrxmvn_general_kernelILj64ELj8EdlidddEEv20rocsparse_direction_NS_24const_host_device_scalarIT1_EET3_PKS5_PKT2_SA_S7_PKT4_S5_PKT5_S4_PT6_21rocsparse_index_base_b: ; @_ZN9rocsparseL22bsrxmvn_general_kernelILj64ELj8EdlidddEEv20rocsparse_direction_NS_24const_host_device_scalarIT1_EET3_PKS5_PKT2_SA_S7_PKT4_S5_PKT5_S4_PT6_21rocsparse_index_base_b
; %bb.0:
	s_clause 0x2
	s_load_dwordx2 s[16:17], s[4:5], 0x60
	s_load_dwordx2 s[2:3], s[4:5], 0x8
	;; [unrolled: 1-line block ×3, first 2 shown]
	s_waitcnt lgkmcnt(0)
	s_bitcmp1_b32 s17, 0
	v_mov_b32_e32 v1, s2
	v_mov_b32_e32 v2, s3
	s_cselect_b32 s7, -1, 0
	s_and_b32 vcc_lo, exec_lo, s7
	s_xor_b32 s7, s7, -1
	s_cbranch_vccnz .LBB15_2
; %bb.1:
	v_mov_b32_e32 v1, s2
	v_mov_b32_e32 v2, s3
	flat_load_dwordx2 v[1:2], v[1:2]
.LBB15_2:
	v_mov_b32_e32 v4, s1
	v_mov_b32_e32 v3, s0
	s_andn2_b32 vcc_lo, exec_lo, s7
	s_cbranch_vccnz .LBB15_4
; %bb.3:
	v_mov_b32_e32 v4, s1
	v_mov_b32_e32 v3, s0
	flat_load_dwordx2 v[3:4], v[3:4]
.LBB15_4:
	s_waitcnt vmcnt(0) lgkmcnt(0)
	v_cmp_neq_f64_e32 vcc_lo, 0, v[1:2]
	v_cmp_neq_f64_e64 s0, 1.0, v[3:4]
	s_or_b32 s0, vcc_lo, s0
	s_and_saveexec_b32 s1, s0
	s_cbranch_execz .LBB15_26
; %bb.5:
	s_load_dwordx2 s[0:1], s[4:5], 0x18
	s_waitcnt lgkmcnt(0)
	s_cmp_eq_u64 s[0:1], 0
	s_cbranch_scc1 .LBB15_7
; %bb.6:
	s_ashr_i32 s7, s6, 31
	s_lshl_b64 s[2:3], s[6:7], 2
	s_add_u32 s0, s0, s2
	s_addc_u32 s1, s1, s3
	s_load_dword s0, s[0:1], 0x0
	s_waitcnt lgkmcnt(0)
	s_sub_i32 s6, s0, s16
.LBB15_7:
	s_load_dword s3, s[4:5], 0x40
	v_lshrrev_b32_e32 v5, 3, v0
	s_waitcnt lgkmcnt(0)
	v_cmp_gt_i32_e32 vcc_lo, s3, v5
	s_and_b32 exec_lo, exec_lo, vcc_lo
	s_cbranch_execz .LBB15_26
; %bb.8:
	s_load_dwordx8 s[8:15], s[4:5], 0x20
	s_ashr_i32 s7, s6, 31
	s_load_dword s28, s[4:5], 0x0
	s_lshl_b64 s[22:23], s[6:7], 3
	v_mbcnt_lo_u32_b32 v6, -1, 0
	v_cmp_eq_f64_e64 s0, 0, v[3:4]
	v_and_b32_e32 v7, 7, v0
	s_mul_hi_u32 s20, s3, s3
	s_mul_i32 s21, s3, s3
	v_xor_b32_e32 v9, 4, v6
	v_xor_b32_e32 v10, 2, v6
	v_xor_b32_e32 v11, 1, v6
	v_mul_lo_u32 v0, s3, v5
	v_mul_lo_u32 v17, s3, v7
	v_cmp_gt_i32_e32 vcc_lo, 32, v9
	v_mov_b32_e32 v8, 0
	s_mov_b32 s17, 0
	v_cndmask_b32_e32 v9, v6, v9, vcc_lo
	s_waitcnt lgkmcnt(0)
	s_add_u32 s24, s8, s22
	s_addc_u32 s25, s9, s23
	v_cmp_gt_i32_e32 vcc_lo, 32, v10
	s_load_dwordx2 s[26:27], s[24:25], 0x0
	s_clause 0x1
	s_load_dwordx2 s[8:9], s[4:5], 0x58
	s_load_dwordx2 s[18:19], s[4:5], 0x48
	v_lshlrev_b32_e32 v18, 2, v9
	v_cndmask_b32_e32 v10, v6, v10, vcc_lo
	v_cmp_gt_i32_e32 vcc_lo, 32, v11
	v_lshlrev_b32_e32 v19, 2, v10
	v_cndmask_b32_e32 v6, v6, v11, vcc_lo
	v_lshlrev_b32_e32 v20, 2, v6
	s_waitcnt lgkmcnt(0)
	s_sub_u32 s4, s26, s16
	s_subb_u32 s5, s27, 0
	s_add_u32 s1, s24, 8
	s_addc_u32 s2, s25, 0
	s_add_u32 s24, s10, s22
	s_addc_u32 s7, s11, s23
	s_cmp_eq_u64 s[10:11], 0
	s_mul_i32 s22, s6, s3
	s_cselect_b32 s7, s2, s7
	s_cselect_b32 s6, s1, s24
	s_mul_i32 s25, s4, s20
	s_load_dwordx2 s[10:11], s[6:7], 0x0
	s_mul_hi_u32 s29, s4, s21
	v_cmp_gt_u32_e64 s1, s3, v7
	v_cmp_eq_u32_e64 s2, 7, v7
	s_mul_i32 s30, s5, s21
	s_waitcnt lgkmcnt(0)
	s_sub_u32 s6, s10, s16
	s_subb_u32 s7, s11, 0
	s_cmp_lg_u32 s28, 0
	v_cmp_lt_i64_e64 s23, s[26:27], s[10:11]
	s_cselect_b32 s24, -1, 0
	s_add_i32 s10, s29, s25
	s_mul_i32 s25, s4, s21
	s_add_i32 s26, s10, s30
	s_lshl_b32 s27, s3, 3
	s_branch .LBB15_10
.LBB15_9:                               ;   in Loop: Header=BB15_10 Depth=1
	s_or_b32 exec_lo, exec_lo, s10
	v_add_nc_u32_e32 v5, 8, v5
	v_add_nc_u32_e32 v0, s27, v0
	v_cmp_le_i32_e32 vcc_lo, s3, v5
	s_or_b32 s17, vcc_lo, s17
	s_andn2_b32 exec_lo, exec_lo, s17
	s_cbranch_execz .LBB15_26
.LBB15_10:                              ; =>This Loop Header: Depth=1
                                        ;     Child Loop BB15_14 Depth 2
                                        ;       Child Loop BB15_17 Depth 3
	v_mov_b32_e32 v9, 0
	v_mov_b32_e32 v10, 0
	s_andn2_b32 vcc_lo, exec_lo, s23
	s_cbranch_vccnz .LBB15_21
; %bb.11:                               ;   in Loop: Header=BB15_10 Depth=1
	v_ashrrev_i32_e32 v6, 31, v0
	v_add_co_u32 v21, vcc_lo, s25, v0
	v_mov_b32_e32 v9, 0
	v_mov_b32_e32 v10, 0
	v_add_co_ci_u32_e64 v22, null, s26, v6, vcc_lo
	v_ashrrev_i32_e32 v6, 31, v5
	s_mov_b64 s[10:11], s[4:5]
	s_branch .LBB15_14
.LBB15_12:                              ;   in Loop: Header=BB15_14 Depth=2
	s_inst_prefetch 0x2
	s_or_b32 exec_lo, exec_lo, s29
.LBB15_13:                              ;   in Loop: Header=BB15_14 Depth=2
	s_or_b32 exec_lo, exec_lo, s28
	s_add_u32 s10, s10, 1
	s_addc_u32 s11, s11, 0
	v_add_co_u32 v21, vcc_lo, v21, s21
	v_cmp_ge_i64_e64 s28, s[10:11], s[6:7]
	v_add_co_ci_u32_e64 v22, null, s20, v22, vcc_lo
	s_and_b32 vcc_lo, exec_lo, s28
	s_cbranch_vccnz .LBB15_21
.LBB15_14:                              ;   Parent Loop BB15_10 Depth=1
                                        ; =>  This Loop Header: Depth=2
                                        ;       Child Loop BB15_17 Depth 3
	s_and_saveexec_b32 s28, s1
	s_cbranch_execz .LBB15_13
; %bb.15:                               ;   in Loop: Header=BB15_14 Depth=2
	s_lshl_b64 s[30:31], s[10:11], 2
	s_waitcnt lgkmcnt(0)
	v_mad_u64_u32 v[11:12], null, s21, s10, v[5:6]
	s_add_u32 s30, s12, s30
	s_addc_u32 s31, s13, s31
	v_mov_b32_e32 v14, v8
	s_load_dword s29, s[30:31], 0x0
	s_mul_i32 s30, s20, s10
	s_mul_i32 s31, s21, s11
	v_mov_b32_e32 v23, v17
	v_mov_b32_e32 v13, v7
	v_add3_u32 v12, s31, s30, v12
	s_waitcnt lgkmcnt(0)
	s_sub_i32 s29, s29, s16
	s_mul_i32 s30, s29, s3
	s_mov_b32 s29, 0
	s_inst_prefetch 0x1
	s_branch .LBB15_17
	.p2align	6
.LBB15_16:                              ;   in Loop: Header=BB15_17 Depth=3
	v_add_nc_u32_e32 v24, s30, v13
	v_lshlrev_b64 v[15:16], 3, v[15:16]
	v_add_nc_u32_e32 v23, s27, v23
	v_ashrrev_i32_e32 v25, 31, v24
	v_add_co_u32 v15, vcc_lo, s14, v15
	v_add_co_ci_u32_e64 v16, null, s15, v16, vcc_lo
	v_lshlrev_b64 v[24:25], 3, v[24:25]
	v_add_co_u32 v24, vcc_lo, s18, v24
	v_add_co_ci_u32_e64 v25, null, s19, v25, vcc_lo
	v_add_co_u32 v13, vcc_lo, v13, 8
	global_load_dwordx2 v[15:16], v[15:16], off
	global_load_dwordx2 v[24:25], v[24:25], off
	v_add_co_ci_u32_e64 v14, null, 0, v14, vcc_lo
	v_cmp_le_i32_e32 vcc_lo, s3, v13
	s_or_b32 s29, vcc_lo, s29
	s_waitcnt vmcnt(0)
	v_fma_f64 v[9:10], v[15:16], v[24:25], v[9:10]
	s_andn2_b32 exec_lo, exec_lo, s29
	s_cbranch_execz .LBB15_12
.LBB15_17:                              ;   Parent Loop BB15_10 Depth=1
                                        ;     Parent Loop BB15_14 Depth=2
                                        ; =>    This Inner Loop Header: Depth=3
	s_and_b32 vcc_lo, exec_lo, s24
	s_cbranch_vccz .LBB15_19
; %bb.18:                               ;   in Loop: Header=BB15_17 Depth=3
	v_ashrrev_i32_e32 v16, 31, v23
	v_add_co_u32 v15, vcc_lo, v11, v23
	v_add_co_ci_u32_e64 v16, null, v12, v16, vcc_lo
	s_cbranch_execnz .LBB15_16
	s_branch .LBB15_20
.LBB15_19:                              ;   in Loop: Header=BB15_17 Depth=3
                                        ; implicit-def: $vgpr15_vgpr16
.LBB15_20:                              ;   in Loop: Header=BB15_17 Depth=3
	v_add_co_u32 v15, vcc_lo, v21, v13
	v_add_co_ci_u32_e64 v16, null, v22, v14, vcc_lo
	s_branch .LBB15_16
.LBB15_21:                              ;   in Loop: Header=BB15_10 Depth=1
	s_waitcnt lgkmcnt(1)
	ds_bpermute_b32 v11, v18, v9
	s_waitcnt lgkmcnt(1)
	ds_bpermute_b32 v12, v18, v10
	s_waitcnt lgkmcnt(0)
	v_add_f64 v[9:10], v[9:10], v[11:12]
	ds_bpermute_b32 v11, v19, v9
	ds_bpermute_b32 v12, v19, v10
	s_waitcnt lgkmcnt(0)
	v_add_f64 v[9:10], v[9:10], v[11:12]
	ds_bpermute_b32 v11, v20, v9
	ds_bpermute_b32 v12, v20, v10
	s_and_saveexec_b32 s10, s2
	s_cbranch_execz .LBB15_9
; %bb.22:                               ;   in Loop: Header=BB15_10 Depth=1
	s_waitcnt lgkmcnt(0)
	v_add_f64 v[9:10], v[9:10], v[11:12]
	v_add_nc_u32_e32 v11, s22, v5
	v_ashrrev_i32_e32 v12, 31, v11
	v_mul_f64 v[9:10], v[1:2], v[9:10]
	s_and_saveexec_b32 s11, s0
	s_xor_b32 s11, exec_lo, s11
	s_cbranch_execz .LBB15_24
; %bb.23:                               ;   in Loop: Header=BB15_10 Depth=1
	v_lshlrev_b64 v[11:12], 3, v[11:12]
	v_add_co_u32 v11, vcc_lo, s8, v11
	v_add_co_ci_u32_e64 v12, null, s9, v12, vcc_lo
	global_store_dwordx2 v[11:12], v[9:10], off
                                        ; implicit-def: $vgpr11
                                        ; implicit-def: $vgpr9_vgpr10
.LBB15_24:                              ;   in Loop: Header=BB15_10 Depth=1
	s_andn2_saveexec_b32 s11, s11
	s_cbranch_execz .LBB15_9
; %bb.25:                               ;   in Loop: Header=BB15_10 Depth=1
	v_lshlrev_b64 v[11:12], 3, v[11:12]
	v_add_co_u32 v11, vcc_lo, s8, v11
	v_add_co_ci_u32_e64 v12, null, s9, v12, vcc_lo
	global_load_dwordx2 v[13:14], v[11:12], off
	s_waitcnt vmcnt(0)
	v_fma_f64 v[9:10], v[3:4], v[13:14], v[9:10]
	global_store_dwordx2 v[11:12], v[9:10], off
	s_branch .LBB15_9
.LBB15_26:
	s_endpgm
	.section	.rodata,"a",@progbits
	.p2align	6, 0x0
	.amdhsa_kernel _ZN9rocsparseL22bsrxmvn_general_kernelILj64ELj8EdlidddEEv20rocsparse_direction_NS_24const_host_device_scalarIT1_EET3_PKS5_PKT2_SA_S7_PKT4_S5_PKT5_S4_PT6_21rocsparse_index_base_b
		.amdhsa_group_segment_fixed_size 0
		.amdhsa_private_segment_fixed_size 0
		.amdhsa_kernarg_size 104
		.amdhsa_user_sgpr_count 6
		.amdhsa_user_sgpr_private_segment_buffer 1
		.amdhsa_user_sgpr_dispatch_ptr 0
		.amdhsa_user_sgpr_queue_ptr 0
		.amdhsa_user_sgpr_kernarg_segment_ptr 1
		.amdhsa_user_sgpr_dispatch_id 0
		.amdhsa_user_sgpr_flat_scratch_init 0
		.amdhsa_user_sgpr_private_segment_size 0
		.amdhsa_wavefront_size32 1
		.amdhsa_uses_dynamic_stack 0
		.amdhsa_system_sgpr_private_segment_wavefront_offset 0
		.amdhsa_system_sgpr_workgroup_id_x 1
		.amdhsa_system_sgpr_workgroup_id_y 0
		.amdhsa_system_sgpr_workgroup_id_z 0
		.amdhsa_system_sgpr_workgroup_info 0
		.amdhsa_system_vgpr_workitem_id 0
		.amdhsa_next_free_vgpr 26
		.amdhsa_next_free_sgpr 32
		.amdhsa_reserve_vcc 1
		.amdhsa_reserve_flat_scratch 0
		.amdhsa_float_round_mode_32 0
		.amdhsa_float_round_mode_16_64 0
		.amdhsa_float_denorm_mode_32 3
		.amdhsa_float_denorm_mode_16_64 3
		.amdhsa_dx10_clamp 1
		.amdhsa_ieee_mode 1
		.amdhsa_fp16_overflow 0
		.amdhsa_workgroup_processor_mode 1
		.amdhsa_memory_ordered 1
		.amdhsa_forward_progress 1
		.amdhsa_shared_vgpr_count 0
		.amdhsa_exception_fp_ieee_invalid_op 0
		.amdhsa_exception_fp_denorm_src 0
		.amdhsa_exception_fp_ieee_div_zero 0
		.amdhsa_exception_fp_ieee_overflow 0
		.amdhsa_exception_fp_ieee_underflow 0
		.amdhsa_exception_fp_ieee_inexact 0
		.amdhsa_exception_int_div_zero 0
	.end_amdhsa_kernel
	.section	.text._ZN9rocsparseL22bsrxmvn_general_kernelILj64ELj8EdlidddEEv20rocsparse_direction_NS_24const_host_device_scalarIT1_EET3_PKS5_PKT2_SA_S7_PKT4_S5_PKT5_S4_PT6_21rocsparse_index_base_b,"axG",@progbits,_ZN9rocsparseL22bsrxmvn_general_kernelILj64ELj8EdlidddEEv20rocsparse_direction_NS_24const_host_device_scalarIT1_EET3_PKS5_PKT2_SA_S7_PKT4_S5_PKT5_S4_PT6_21rocsparse_index_base_b,comdat
.Lfunc_end15:
	.size	_ZN9rocsparseL22bsrxmvn_general_kernelILj64ELj8EdlidddEEv20rocsparse_direction_NS_24const_host_device_scalarIT1_EET3_PKS5_PKT2_SA_S7_PKT4_S5_PKT5_S4_PT6_21rocsparse_index_base_b, .Lfunc_end15-_ZN9rocsparseL22bsrxmvn_general_kernelILj64ELj8EdlidddEEv20rocsparse_direction_NS_24const_host_device_scalarIT1_EET3_PKS5_PKT2_SA_S7_PKT4_S5_PKT5_S4_PT6_21rocsparse_index_base_b
                                        ; -- End function
	.set _ZN9rocsparseL22bsrxmvn_general_kernelILj64ELj8EdlidddEEv20rocsparse_direction_NS_24const_host_device_scalarIT1_EET3_PKS5_PKT2_SA_S7_PKT4_S5_PKT5_S4_PT6_21rocsparse_index_base_b.num_vgpr, 26
	.set _ZN9rocsparseL22bsrxmvn_general_kernelILj64ELj8EdlidddEEv20rocsparse_direction_NS_24const_host_device_scalarIT1_EET3_PKS5_PKT2_SA_S7_PKT4_S5_PKT5_S4_PT6_21rocsparse_index_base_b.num_agpr, 0
	.set _ZN9rocsparseL22bsrxmvn_general_kernelILj64ELj8EdlidddEEv20rocsparse_direction_NS_24const_host_device_scalarIT1_EET3_PKS5_PKT2_SA_S7_PKT4_S5_PKT5_S4_PT6_21rocsparse_index_base_b.numbered_sgpr, 32
	.set _ZN9rocsparseL22bsrxmvn_general_kernelILj64ELj8EdlidddEEv20rocsparse_direction_NS_24const_host_device_scalarIT1_EET3_PKS5_PKT2_SA_S7_PKT4_S5_PKT5_S4_PT6_21rocsparse_index_base_b.num_named_barrier, 0
	.set _ZN9rocsparseL22bsrxmvn_general_kernelILj64ELj8EdlidddEEv20rocsparse_direction_NS_24const_host_device_scalarIT1_EET3_PKS5_PKT2_SA_S7_PKT4_S5_PKT5_S4_PT6_21rocsparse_index_base_b.private_seg_size, 0
	.set _ZN9rocsparseL22bsrxmvn_general_kernelILj64ELj8EdlidddEEv20rocsparse_direction_NS_24const_host_device_scalarIT1_EET3_PKS5_PKT2_SA_S7_PKT4_S5_PKT5_S4_PT6_21rocsparse_index_base_b.uses_vcc, 1
	.set _ZN9rocsparseL22bsrxmvn_general_kernelILj64ELj8EdlidddEEv20rocsparse_direction_NS_24const_host_device_scalarIT1_EET3_PKS5_PKT2_SA_S7_PKT4_S5_PKT5_S4_PT6_21rocsparse_index_base_b.uses_flat_scratch, 0
	.set _ZN9rocsparseL22bsrxmvn_general_kernelILj64ELj8EdlidddEEv20rocsparse_direction_NS_24const_host_device_scalarIT1_EET3_PKS5_PKT2_SA_S7_PKT4_S5_PKT5_S4_PT6_21rocsparse_index_base_b.has_dyn_sized_stack, 0
	.set _ZN9rocsparseL22bsrxmvn_general_kernelILj64ELj8EdlidddEEv20rocsparse_direction_NS_24const_host_device_scalarIT1_EET3_PKS5_PKT2_SA_S7_PKT4_S5_PKT5_S4_PT6_21rocsparse_index_base_b.has_recursion, 0
	.set _ZN9rocsparseL22bsrxmvn_general_kernelILj64ELj8EdlidddEEv20rocsparse_direction_NS_24const_host_device_scalarIT1_EET3_PKS5_PKT2_SA_S7_PKT4_S5_PKT5_S4_PT6_21rocsparse_index_base_b.has_indirect_call, 0
	.section	.AMDGPU.csdata,"",@progbits
; Kernel info:
; codeLenInByte = 1172
; TotalNumSgprs: 34
; NumVgprs: 26
; ScratchSize: 0
; MemoryBound: 0
; FloatMode: 240
; IeeeMode: 1
; LDSByteSize: 0 bytes/workgroup (compile time only)
; SGPRBlocks: 0
; VGPRBlocks: 3
; NumSGPRsForWavesPerEU: 34
; NumVGPRsForWavesPerEU: 26
; Occupancy: 16
; WaveLimiterHint : 1
; COMPUTE_PGM_RSRC2:SCRATCH_EN: 0
; COMPUTE_PGM_RSRC2:USER_SGPR: 6
; COMPUTE_PGM_RSRC2:TRAP_HANDLER: 0
; COMPUTE_PGM_RSRC2:TGID_X_EN: 1
; COMPUTE_PGM_RSRC2:TGID_Y_EN: 0
; COMPUTE_PGM_RSRC2:TGID_Z_EN: 0
; COMPUTE_PGM_RSRC2:TIDIG_COMP_CNT: 0
	.section	.text._ZN9rocsparseL22bsrxmvn_general_kernelILj256ELj16EdlidddEEv20rocsparse_direction_NS_24const_host_device_scalarIT1_EET3_PKS5_PKT2_SA_S7_PKT4_S5_PKT5_S4_PT6_21rocsparse_index_base_b,"axG",@progbits,_ZN9rocsparseL22bsrxmvn_general_kernelILj256ELj16EdlidddEEv20rocsparse_direction_NS_24const_host_device_scalarIT1_EET3_PKS5_PKT2_SA_S7_PKT4_S5_PKT5_S4_PT6_21rocsparse_index_base_b,comdat
	.globl	_ZN9rocsparseL22bsrxmvn_general_kernelILj256ELj16EdlidddEEv20rocsparse_direction_NS_24const_host_device_scalarIT1_EET3_PKS5_PKT2_SA_S7_PKT4_S5_PKT5_S4_PT6_21rocsparse_index_base_b ; -- Begin function _ZN9rocsparseL22bsrxmvn_general_kernelILj256ELj16EdlidddEEv20rocsparse_direction_NS_24const_host_device_scalarIT1_EET3_PKS5_PKT2_SA_S7_PKT4_S5_PKT5_S4_PT6_21rocsparse_index_base_b
	.p2align	8
	.type	_ZN9rocsparseL22bsrxmvn_general_kernelILj256ELj16EdlidddEEv20rocsparse_direction_NS_24const_host_device_scalarIT1_EET3_PKS5_PKT2_SA_S7_PKT4_S5_PKT5_S4_PT6_21rocsparse_index_base_b,@function
_ZN9rocsparseL22bsrxmvn_general_kernelILj256ELj16EdlidddEEv20rocsparse_direction_NS_24const_host_device_scalarIT1_EET3_PKS5_PKT2_SA_S7_PKT4_S5_PKT5_S4_PT6_21rocsparse_index_base_b: ; @_ZN9rocsparseL22bsrxmvn_general_kernelILj256ELj16EdlidddEEv20rocsparse_direction_NS_24const_host_device_scalarIT1_EET3_PKS5_PKT2_SA_S7_PKT4_S5_PKT5_S4_PT6_21rocsparse_index_base_b
; %bb.0:
	s_clause 0x2
	s_load_dwordx2 s[16:17], s[4:5], 0x60
	s_load_dwordx2 s[2:3], s[4:5], 0x8
	;; [unrolled: 1-line block ×3, first 2 shown]
	s_waitcnt lgkmcnt(0)
	s_bitcmp1_b32 s17, 0
	v_mov_b32_e32 v1, s2
	v_mov_b32_e32 v2, s3
	s_cselect_b32 s7, -1, 0
	s_and_b32 vcc_lo, exec_lo, s7
	s_xor_b32 s7, s7, -1
	s_cbranch_vccnz .LBB16_2
; %bb.1:
	v_mov_b32_e32 v1, s2
	v_mov_b32_e32 v2, s3
	flat_load_dwordx2 v[1:2], v[1:2]
.LBB16_2:
	v_mov_b32_e32 v4, s1
	v_mov_b32_e32 v3, s0
	s_andn2_b32 vcc_lo, exec_lo, s7
	s_cbranch_vccnz .LBB16_4
; %bb.3:
	v_mov_b32_e32 v4, s1
	v_mov_b32_e32 v3, s0
	flat_load_dwordx2 v[3:4], v[3:4]
.LBB16_4:
	s_waitcnt vmcnt(0) lgkmcnt(0)
	v_cmp_neq_f64_e32 vcc_lo, 0, v[1:2]
	v_cmp_neq_f64_e64 s0, 1.0, v[3:4]
	s_or_b32 s0, vcc_lo, s0
	s_and_saveexec_b32 s1, s0
	s_cbranch_execz .LBB16_26
; %bb.5:
	s_load_dwordx2 s[0:1], s[4:5], 0x18
	s_waitcnt lgkmcnt(0)
	s_cmp_eq_u64 s[0:1], 0
	s_cbranch_scc1 .LBB16_7
; %bb.6:
	s_ashr_i32 s7, s6, 31
	s_lshl_b64 s[2:3], s[6:7], 2
	s_add_u32 s0, s0, s2
	s_addc_u32 s1, s1, s3
	s_load_dword s0, s[0:1], 0x0
	s_waitcnt lgkmcnt(0)
	s_sub_i32 s6, s0, s16
.LBB16_7:
	s_load_dword s3, s[4:5], 0x40
	v_lshrrev_b32_e32 v5, 4, v0
	s_waitcnt lgkmcnt(0)
	v_cmp_gt_i32_e32 vcc_lo, s3, v5
	s_and_b32 exec_lo, exec_lo, vcc_lo
	s_cbranch_execz .LBB16_26
; %bb.8:
	s_load_dwordx8 s[8:15], s[4:5], 0x20
	s_ashr_i32 s7, s6, 31
	v_mbcnt_lo_u32_b32 v6, -1, 0
	s_lshl_b64 s[26:27], s[6:7], 3
	s_load_dword s25, s[4:5], 0x0
	s_mul_i32 s24, s6, s3
	v_cmp_eq_f64_e64 s0, 0, v[3:4]
	v_xor_b32_e32 v9, 8, v6
	v_xor_b32_e32 v10, 4, v6
	v_xor_b32_e32 v11, 2, v6
	v_xor_b32_e32 v12, 1, v6
	v_and_b32_e32 v7, 15, v0
	v_cmp_gt_i32_e32 vcc_lo, 32, v9
	s_mul_hi_u32 s22, s3, s3
	s_mul_i32 s23, s3, s3
	v_mul_lo_u32 v0, s3, v5
	v_mul_lo_u32 v17, s3, v7
	v_cndmask_b32_e32 v9, v6, v9, vcc_lo
	v_cmp_gt_i32_e32 vcc_lo, 32, v10
	v_mov_b32_e32 v8, 0
	s_waitcnt lgkmcnt(0)
	s_add_u32 s28, s8, s26
	s_addc_u32 s29, s9, s27
	v_cmp_gt_u32_e64 s1, s3, v7
	s_load_dwordx2 s[20:21], s[28:29], 0x0
	s_clause 0x1
	s_load_dwordx2 s[8:9], s[4:5], 0x58
	s_load_dwordx2 s[18:19], s[4:5], 0x48
	v_cndmask_b32_e32 v10, v6, v10, vcc_lo
	v_cmp_gt_i32_e32 vcc_lo, 32, v11
	v_lshlrev_b32_e32 v18, 2, v9
	s_mov_b32 s17, 0
	v_lshlrev_b32_e32 v19, 2, v10
	v_cndmask_b32_e32 v11, v6, v11, vcc_lo
	v_cmp_gt_i32_e32 vcc_lo, 32, v12
	v_lshlrev_b32_e32 v20, 2, v11
	v_cndmask_b32_e32 v6, v6, v12, vcc_lo
	v_lshlrev_b32_e32 v21, 2, v6
	s_waitcnt lgkmcnt(0)
	s_sub_u32 s4, s20, s16
	s_subb_u32 s5, s21, 0
	s_add_u32 s2, s28, 8
	s_addc_u32 s6, s29, 0
	s_add_u32 s26, s10, s26
	s_addc_u32 s7, s11, s27
	s_cmp_eq_u64 s[10:11], 0
	s_mul_hi_u32 s27, s4, s23
	s_cselect_b32 s7, s6, s7
	s_cselect_b32 s6, s2, s26
	s_mul_i32 s26, s4, s22
	s_load_dwordx2 s[10:11], s[6:7], 0x0
	v_cmp_eq_u32_e64 s2, 15, v7
	s_mul_i32 s28, s5, s23
	s_waitcnt lgkmcnt(0)
	s_sub_u32 s6, s10, s16
	s_subb_u32 s7, s11, 0
	s_cmp_lg_u32 s25, 0
	v_cmp_lt_i64_e64 s20, s[20:21], s[10:11]
	s_cselect_b32 s21, -1, 0
	s_add_i32 s10, s27, s26
	s_mul_i32 s25, s4, s23
	s_add_i32 s26, s10, s28
	s_lshl_b32 s27, s3, 4
	s_branch .LBB16_10
.LBB16_9:                               ;   in Loop: Header=BB16_10 Depth=1
	s_or_b32 exec_lo, exec_lo, s10
	v_add_nc_u32_e32 v5, 16, v5
	v_add_nc_u32_e32 v0, s27, v0
	v_cmp_le_i32_e32 vcc_lo, s3, v5
	s_or_b32 s17, vcc_lo, s17
	s_andn2_b32 exec_lo, exec_lo, s17
	s_cbranch_execz .LBB16_26
.LBB16_10:                              ; =>This Loop Header: Depth=1
                                        ;     Child Loop BB16_14 Depth 2
                                        ;       Child Loop BB16_17 Depth 3
	v_mov_b32_e32 v9, 0
	v_mov_b32_e32 v10, 0
	s_andn2_b32 vcc_lo, exec_lo, s20
	s_cbranch_vccnz .LBB16_21
; %bb.11:                               ;   in Loop: Header=BB16_10 Depth=1
	v_ashrrev_i32_e32 v6, 31, v0
	v_add_co_u32 v22, vcc_lo, s25, v0
	v_mov_b32_e32 v9, 0
	v_mov_b32_e32 v10, 0
	v_add_co_ci_u32_e64 v23, null, s26, v6, vcc_lo
	v_ashrrev_i32_e32 v6, 31, v5
	s_mov_b64 s[10:11], s[4:5]
	s_branch .LBB16_14
.LBB16_12:                              ;   in Loop: Header=BB16_14 Depth=2
	s_inst_prefetch 0x2
	s_or_b32 exec_lo, exec_lo, s29
.LBB16_13:                              ;   in Loop: Header=BB16_14 Depth=2
	s_or_b32 exec_lo, exec_lo, s28
	s_add_u32 s10, s10, 1
	s_addc_u32 s11, s11, 0
	v_add_co_u32 v22, vcc_lo, v22, s23
	v_cmp_ge_i64_e64 s28, s[10:11], s[6:7]
	v_add_co_ci_u32_e64 v23, null, s22, v23, vcc_lo
	s_and_b32 vcc_lo, exec_lo, s28
	s_cbranch_vccnz .LBB16_21
.LBB16_14:                              ;   Parent Loop BB16_10 Depth=1
                                        ; =>  This Loop Header: Depth=2
                                        ;       Child Loop BB16_17 Depth 3
	s_and_saveexec_b32 s28, s1
	s_cbranch_execz .LBB16_13
; %bb.15:                               ;   in Loop: Header=BB16_14 Depth=2
	s_lshl_b64 s[30:31], s[10:11], 2
	s_waitcnt lgkmcnt(0)
	v_mad_u64_u32 v[11:12], null, s23, s10, v[5:6]
	s_add_u32 s30, s12, s30
	s_addc_u32 s31, s13, s31
	v_mov_b32_e32 v14, v8
	s_load_dword s29, s[30:31], 0x0
	s_mul_i32 s30, s22, s10
	s_mul_i32 s31, s23, s11
	v_mov_b32_e32 v24, v17
	v_mov_b32_e32 v13, v7
	v_add3_u32 v12, s31, s30, v12
	s_waitcnt lgkmcnt(0)
	s_sub_i32 s29, s29, s16
	s_mul_i32 s30, s29, s3
	s_mov_b32 s29, 0
	s_inst_prefetch 0x1
	s_branch .LBB16_17
	.p2align	6
.LBB16_16:                              ;   in Loop: Header=BB16_17 Depth=3
	v_add_nc_u32_e32 v25, s30, v13
	v_lshlrev_b64 v[15:16], 3, v[15:16]
	v_add_nc_u32_e32 v24, s27, v24
	v_ashrrev_i32_e32 v26, 31, v25
	v_add_co_u32 v15, vcc_lo, s14, v15
	v_add_co_ci_u32_e64 v16, null, s15, v16, vcc_lo
	v_lshlrev_b64 v[25:26], 3, v[25:26]
	v_add_co_u32 v25, vcc_lo, s18, v25
	v_add_co_ci_u32_e64 v26, null, s19, v26, vcc_lo
	v_add_co_u32 v13, vcc_lo, v13, 16
	global_load_dwordx2 v[15:16], v[15:16], off
	global_load_dwordx2 v[25:26], v[25:26], off
	v_add_co_ci_u32_e64 v14, null, 0, v14, vcc_lo
	v_cmp_le_i32_e32 vcc_lo, s3, v13
	s_or_b32 s29, vcc_lo, s29
	s_waitcnt vmcnt(0)
	v_fma_f64 v[9:10], v[15:16], v[25:26], v[9:10]
	s_andn2_b32 exec_lo, exec_lo, s29
	s_cbranch_execz .LBB16_12
.LBB16_17:                              ;   Parent Loop BB16_10 Depth=1
                                        ;     Parent Loop BB16_14 Depth=2
                                        ; =>    This Inner Loop Header: Depth=3
	s_and_b32 vcc_lo, exec_lo, s21
	s_cbranch_vccz .LBB16_19
; %bb.18:                               ;   in Loop: Header=BB16_17 Depth=3
	v_ashrrev_i32_e32 v16, 31, v24
	v_add_co_u32 v15, vcc_lo, v11, v24
	v_add_co_ci_u32_e64 v16, null, v12, v16, vcc_lo
	s_cbranch_execnz .LBB16_16
	s_branch .LBB16_20
.LBB16_19:                              ;   in Loop: Header=BB16_17 Depth=3
                                        ; implicit-def: $vgpr15_vgpr16
.LBB16_20:                              ;   in Loop: Header=BB16_17 Depth=3
	v_add_co_u32 v15, vcc_lo, v22, v13
	v_add_co_ci_u32_e64 v16, null, v23, v14, vcc_lo
	s_branch .LBB16_16
.LBB16_21:                              ;   in Loop: Header=BB16_10 Depth=1
	s_waitcnt lgkmcnt(1)
	ds_bpermute_b32 v11, v18, v9
	s_waitcnt lgkmcnt(1)
	ds_bpermute_b32 v12, v18, v10
	s_waitcnt lgkmcnt(0)
	v_add_f64 v[9:10], v[9:10], v[11:12]
	ds_bpermute_b32 v11, v19, v9
	ds_bpermute_b32 v12, v19, v10
	s_waitcnt lgkmcnt(0)
	v_add_f64 v[9:10], v[9:10], v[11:12]
	ds_bpermute_b32 v11, v20, v9
	;; [unrolled: 4-line block ×3, first 2 shown]
	ds_bpermute_b32 v12, v21, v10
	s_and_saveexec_b32 s10, s2
	s_cbranch_execz .LBB16_9
; %bb.22:                               ;   in Loop: Header=BB16_10 Depth=1
	s_waitcnt lgkmcnt(0)
	v_add_f64 v[9:10], v[9:10], v[11:12]
	v_add_nc_u32_e32 v11, s24, v5
	v_ashrrev_i32_e32 v12, 31, v11
	v_mul_f64 v[9:10], v[1:2], v[9:10]
	s_and_saveexec_b32 s11, s0
	s_xor_b32 s11, exec_lo, s11
	s_cbranch_execz .LBB16_24
; %bb.23:                               ;   in Loop: Header=BB16_10 Depth=1
	v_lshlrev_b64 v[11:12], 3, v[11:12]
	v_add_co_u32 v11, vcc_lo, s8, v11
	v_add_co_ci_u32_e64 v12, null, s9, v12, vcc_lo
	global_store_dwordx2 v[11:12], v[9:10], off
                                        ; implicit-def: $vgpr11
                                        ; implicit-def: $vgpr9_vgpr10
.LBB16_24:                              ;   in Loop: Header=BB16_10 Depth=1
	s_andn2_saveexec_b32 s11, s11
	s_cbranch_execz .LBB16_9
; %bb.25:                               ;   in Loop: Header=BB16_10 Depth=1
	v_lshlrev_b64 v[11:12], 3, v[11:12]
	v_add_co_u32 v11, vcc_lo, s8, v11
	v_add_co_ci_u32_e64 v12, null, s9, v12, vcc_lo
	global_load_dwordx2 v[13:14], v[11:12], off
	s_waitcnt vmcnt(0)
	v_fma_f64 v[9:10], v[3:4], v[13:14], v[9:10]
	global_store_dwordx2 v[11:12], v[9:10], off
	s_branch .LBB16_9
.LBB16_26:
	s_endpgm
	.section	.rodata,"a",@progbits
	.p2align	6, 0x0
	.amdhsa_kernel _ZN9rocsparseL22bsrxmvn_general_kernelILj256ELj16EdlidddEEv20rocsparse_direction_NS_24const_host_device_scalarIT1_EET3_PKS5_PKT2_SA_S7_PKT4_S5_PKT5_S4_PT6_21rocsparse_index_base_b
		.amdhsa_group_segment_fixed_size 0
		.amdhsa_private_segment_fixed_size 0
		.amdhsa_kernarg_size 104
		.amdhsa_user_sgpr_count 6
		.amdhsa_user_sgpr_private_segment_buffer 1
		.amdhsa_user_sgpr_dispatch_ptr 0
		.amdhsa_user_sgpr_queue_ptr 0
		.amdhsa_user_sgpr_kernarg_segment_ptr 1
		.amdhsa_user_sgpr_dispatch_id 0
		.amdhsa_user_sgpr_flat_scratch_init 0
		.amdhsa_user_sgpr_private_segment_size 0
		.amdhsa_wavefront_size32 1
		.amdhsa_uses_dynamic_stack 0
		.amdhsa_system_sgpr_private_segment_wavefront_offset 0
		.amdhsa_system_sgpr_workgroup_id_x 1
		.amdhsa_system_sgpr_workgroup_id_y 0
		.amdhsa_system_sgpr_workgroup_id_z 0
		.amdhsa_system_sgpr_workgroup_info 0
		.amdhsa_system_vgpr_workitem_id 0
		.amdhsa_next_free_vgpr 27
		.amdhsa_next_free_sgpr 32
		.amdhsa_reserve_vcc 1
		.amdhsa_reserve_flat_scratch 0
		.amdhsa_float_round_mode_32 0
		.amdhsa_float_round_mode_16_64 0
		.amdhsa_float_denorm_mode_32 3
		.amdhsa_float_denorm_mode_16_64 3
		.amdhsa_dx10_clamp 1
		.amdhsa_ieee_mode 1
		.amdhsa_fp16_overflow 0
		.amdhsa_workgroup_processor_mode 1
		.amdhsa_memory_ordered 1
		.amdhsa_forward_progress 1
		.amdhsa_shared_vgpr_count 0
		.amdhsa_exception_fp_ieee_invalid_op 0
		.amdhsa_exception_fp_denorm_src 0
		.amdhsa_exception_fp_ieee_div_zero 0
		.amdhsa_exception_fp_ieee_overflow 0
		.amdhsa_exception_fp_ieee_underflow 0
		.amdhsa_exception_fp_ieee_inexact 0
		.amdhsa_exception_int_div_zero 0
	.end_amdhsa_kernel
	.section	.text._ZN9rocsparseL22bsrxmvn_general_kernelILj256ELj16EdlidddEEv20rocsparse_direction_NS_24const_host_device_scalarIT1_EET3_PKS5_PKT2_SA_S7_PKT4_S5_PKT5_S4_PT6_21rocsparse_index_base_b,"axG",@progbits,_ZN9rocsparseL22bsrxmvn_general_kernelILj256ELj16EdlidddEEv20rocsparse_direction_NS_24const_host_device_scalarIT1_EET3_PKS5_PKT2_SA_S7_PKT4_S5_PKT5_S4_PT6_21rocsparse_index_base_b,comdat
.Lfunc_end16:
	.size	_ZN9rocsparseL22bsrxmvn_general_kernelILj256ELj16EdlidddEEv20rocsparse_direction_NS_24const_host_device_scalarIT1_EET3_PKS5_PKT2_SA_S7_PKT4_S5_PKT5_S4_PT6_21rocsparse_index_base_b, .Lfunc_end16-_ZN9rocsparseL22bsrxmvn_general_kernelILj256ELj16EdlidddEEv20rocsparse_direction_NS_24const_host_device_scalarIT1_EET3_PKS5_PKT2_SA_S7_PKT4_S5_PKT5_S4_PT6_21rocsparse_index_base_b
                                        ; -- End function
	.set _ZN9rocsparseL22bsrxmvn_general_kernelILj256ELj16EdlidddEEv20rocsparse_direction_NS_24const_host_device_scalarIT1_EET3_PKS5_PKT2_SA_S7_PKT4_S5_PKT5_S4_PT6_21rocsparse_index_base_b.num_vgpr, 27
	.set _ZN9rocsparseL22bsrxmvn_general_kernelILj256ELj16EdlidddEEv20rocsparse_direction_NS_24const_host_device_scalarIT1_EET3_PKS5_PKT2_SA_S7_PKT4_S5_PKT5_S4_PT6_21rocsparse_index_base_b.num_agpr, 0
	.set _ZN9rocsparseL22bsrxmvn_general_kernelILj256ELj16EdlidddEEv20rocsparse_direction_NS_24const_host_device_scalarIT1_EET3_PKS5_PKT2_SA_S7_PKT4_S5_PKT5_S4_PT6_21rocsparse_index_base_b.numbered_sgpr, 32
	.set _ZN9rocsparseL22bsrxmvn_general_kernelILj256ELj16EdlidddEEv20rocsparse_direction_NS_24const_host_device_scalarIT1_EET3_PKS5_PKT2_SA_S7_PKT4_S5_PKT5_S4_PT6_21rocsparse_index_base_b.num_named_barrier, 0
	.set _ZN9rocsparseL22bsrxmvn_general_kernelILj256ELj16EdlidddEEv20rocsparse_direction_NS_24const_host_device_scalarIT1_EET3_PKS5_PKT2_SA_S7_PKT4_S5_PKT5_S4_PT6_21rocsparse_index_base_b.private_seg_size, 0
	.set _ZN9rocsparseL22bsrxmvn_general_kernelILj256ELj16EdlidddEEv20rocsparse_direction_NS_24const_host_device_scalarIT1_EET3_PKS5_PKT2_SA_S7_PKT4_S5_PKT5_S4_PT6_21rocsparse_index_base_b.uses_vcc, 1
	.set _ZN9rocsparseL22bsrxmvn_general_kernelILj256ELj16EdlidddEEv20rocsparse_direction_NS_24const_host_device_scalarIT1_EET3_PKS5_PKT2_SA_S7_PKT4_S5_PKT5_S4_PT6_21rocsparse_index_base_b.uses_flat_scratch, 0
	.set _ZN9rocsparseL22bsrxmvn_general_kernelILj256ELj16EdlidddEEv20rocsparse_direction_NS_24const_host_device_scalarIT1_EET3_PKS5_PKT2_SA_S7_PKT4_S5_PKT5_S4_PT6_21rocsparse_index_base_b.has_dyn_sized_stack, 0
	.set _ZN9rocsparseL22bsrxmvn_general_kernelILj256ELj16EdlidddEEv20rocsparse_direction_NS_24const_host_device_scalarIT1_EET3_PKS5_PKT2_SA_S7_PKT4_S5_PKT5_S4_PT6_21rocsparse_index_base_b.has_recursion, 0
	.set _ZN9rocsparseL22bsrxmvn_general_kernelILj256ELj16EdlidddEEv20rocsparse_direction_NS_24const_host_device_scalarIT1_EET3_PKS5_PKT2_SA_S7_PKT4_S5_PKT5_S4_PT6_21rocsparse_index_base_b.has_indirect_call, 0
	.section	.AMDGPU.csdata,"",@progbits
; Kernel info:
; codeLenInByte = 1200
; TotalNumSgprs: 34
; NumVgprs: 27
; ScratchSize: 0
; MemoryBound: 0
; FloatMode: 240
; IeeeMode: 1
; LDSByteSize: 0 bytes/workgroup (compile time only)
; SGPRBlocks: 0
; VGPRBlocks: 3
; NumSGPRsForWavesPerEU: 34
; NumVGPRsForWavesPerEU: 27
; Occupancy: 16
; WaveLimiterHint : 1
; COMPUTE_PGM_RSRC2:SCRATCH_EN: 0
; COMPUTE_PGM_RSRC2:USER_SGPR: 6
; COMPUTE_PGM_RSRC2:TRAP_HANDLER: 0
; COMPUTE_PGM_RSRC2:TGID_X_EN: 1
; COMPUTE_PGM_RSRC2:TGID_Y_EN: 0
; COMPUTE_PGM_RSRC2:TGID_Z_EN: 0
; COMPUTE_PGM_RSRC2:TIDIG_COMP_CNT: 0
	.section	.text._ZN9rocsparseL22bsrxmvn_general_kernelILj1024ELj32EdlidddEEv20rocsparse_direction_NS_24const_host_device_scalarIT1_EET3_PKS5_PKT2_SA_S7_PKT4_S5_PKT5_S4_PT6_21rocsparse_index_base_b,"axG",@progbits,_ZN9rocsparseL22bsrxmvn_general_kernelILj1024ELj32EdlidddEEv20rocsparse_direction_NS_24const_host_device_scalarIT1_EET3_PKS5_PKT2_SA_S7_PKT4_S5_PKT5_S4_PT6_21rocsparse_index_base_b,comdat
	.globl	_ZN9rocsparseL22bsrxmvn_general_kernelILj1024ELj32EdlidddEEv20rocsparse_direction_NS_24const_host_device_scalarIT1_EET3_PKS5_PKT2_SA_S7_PKT4_S5_PKT5_S4_PT6_21rocsparse_index_base_b ; -- Begin function _ZN9rocsparseL22bsrxmvn_general_kernelILj1024ELj32EdlidddEEv20rocsparse_direction_NS_24const_host_device_scalarIT1_EET3_PKS5_PKT2_SA_S7_PKT4_S5_PKT5_S4_PT6_21rocsparse_index_base_b
	.p2align	8
	.type	_ZN9rocsparseL22bsrxmvn_general_kernelILj1024ELj32EdlidddEEv20rocsparse_direction_NS_24const_host_device_scalarIT1_EET3_PKS5_PKT2_SA_S7_PKT4_S5_PKT5_S4_PT6_21rocsparse_index_base_b,@function
_ZN9rocsparseL22bsrxmvn_general_kernelILj1024ELj32EdlidddEEv20rocsparse_direction_NS_24const_host_device_scalarIT1_EET3_PKS5_PKT2_SA_S7_PKT4_S5_PKT5_S4_PT6_21rocsparse_index_base_b: ; @_ZN9rocsparseL22bsrxmvn_general_kernelILj1024ELj32EdlidddEEv20rocsparse_direction_NS_24const_host_device_scalarIT1_EET3_PKS5_PKT2_SA_S7_PKT4_S5_PKT5_S4_PT6_21rocsparse_index_base_b
; %bb.0:
	s_clause 0x2
	s_load_dwordx2 s[16:17], s[4:5], 0x60
	s_load_dwordx2 s[2:3], s[4:5], 0x8
	;; [unrolled: 1-line block ×3, first 2 shown]
	s_waitcnt lgkmcnt(0)
	s_bitcmp1_b32 s17, 0
	v_mov_b32_e32 v1, s2
	v_mov_b32_e32 v2, s3
	s_cselect_b32 s7, -1, 0
	s_and_b32 vcc_lo, exec_lo, s7
	s_xor_b32 s7, s7, -1
	s_cbranch_vccnz .LBB17_2
; %bb.1:
	v_mov_b32_e32 v1, s2
	v_mov_b32_e32 v2, s3
	flat_load_dwordx2 v[1:2], v[1:2]
.LBB17_2:
	v_mov_b32_e32 v4, s1
	v_mov_b32_e32 v3, s0
	s_andn2_b32 vcc_lo, exec_lo, s7
	s_cbranch_vccnz .LBB17_4
; %bb.3:
	v_mov_b32_e32 v4, s1
	v_mov_b32_e32 v3, s0
	flat_load_dwordx2 v[3:4], v[3:4]
.LBB17_4:
	s_waitcnt vmcnt(0) lgkmcnt(0)
	v_cmp_neq_f64_e32 vcc_lo, 0, v[1:2]
	v_cmp_neq_f64_e64 s0, 1.0, v[3:4]
	s_or_b32 s0, vcc_lo, s0
	s_and_saveexec_b32 s1, s0
	s_cbranch_execz .LBB17_26
; %bb.5:
	s_load_dwordx2 s[0:1], s[4:5], 0x18
	s_waitcnt lgkmcnt(0)
	s_cmp_eq_u64 s[0:1], 0
	s_cbranch_scc1 .LBB17_7
; %bb.6:
	s_ashr_i32 s7, s6, 31
	s_lshl_b64 s[2:3], s[6:7], 2
	s_add_u32 s0, s0, s2
	s_addc_u32 s1, s1, s3
	s_load_dword s0, s[0:1], 0x0
	s_waitcnt lgkmcnt(0)
	s_sub_i32 s6, s0, s16
.LBB17_7:
	s_load_dword s3, s[4:5], 0x40
	v_lshrrev_b32_e32 v5, 5, v0
	s_waitcnt lgkmcnt(0)
	v_cmp_gt_i32_e32 vcc_lo, s3, v5
	s_and_b32 exec_lo, exec_lo, vcc_lo
	s_cbranch_execz .LBB17_26
; %bb.8:
	s_load_dwordx8 s[8:15], s[4:5], 0x20
	s_ashr_i32 s7, s6, 31
	v_mbcnt_lo_u32_b32 v9, -1, 0
	s_lshl_b64 s[26:27], s[6:7], 3
	s_load_dword s25, s[4:5], 0x0
	s_mul_i32 s24, s6, s3
	v_cmp_eq_f64_e64 s0, 0, v[3:4]
	v_xor_b32_e32 v10, 16, v9
	v_xor_b32_e32 v11, 8, v9
	;; [unrolled: 1-line block ×5, first 2 shown]
	v_cmp_gt_i32_e32 vcc_lo, 32, v10
	v_and_b32_e32 v7, 31, v0
	v_mov_b32_e32 v6, 0
	s_mul_hi_u32 s22, s3, s3
	s_mul_i32 s23, s3, s3
	v_cndmask_b32_e32 v10, v9, v10, vcc_lo
	v_cmp_gt_i32_e32 vcc_lo, 32, v11
	v_mul_lo_u32 v0, s3, v5
	s_waitcnt lgkmcnt(0)
	s_add_u32 s28, s8, s26
	s_addc_u32 s29, s9, s27
	v_mul_lo_u32 v17, s3, v7
	s_load_dwordx2 s[20:21], s[28:29], 0x0
	s_clause 0x1
	s_load_dwordx2 s[8:9], s[4:5], 0x58
	s_load_dwordx2 s[18:19], s[4:5], 0x48
	v_cndmask_b32_e32 v11, v9, v11, vcc_lo
	v_cmp_gt_i32_e32 vcc_lo, 32, v12
	v_cmp_gt_u32_e64 s1, s3, v7
	v_cmp_eq_u32_e64 s2, 31, v7
	v_mov_b32_e32 v8, v6
	v_lshlrev_b32_e32 v18, 2, v10
	v_cndmask_b32_e32 v12, v9, v12, vcc_lo
	v_cmp_gt_i32_e32 vcc_lo, 32, v13
	v_lshlrev_b32_e32 v19, 2, v11
	s_mov_b32 s17, 0
	v_lshlrev_b32_e32 v20, 2, v12
	v_cndmask_b32_e32 v13, v9, v13, vcc_lo
	v_cmp_gt_i32_e32 vcc_lo, 32, v14
	v_lshlrev_b32_e32 v21, 2, v13
	s_waitcnt lgkmcnt(0)
	s_sub_u32 s4, s20, s16
	s_subb_u32 s5, s21, 0
	s_add_u32 s6, s28, 8
	s_addc_u32 s7, s29, 0
	s_add_u32 s26, s10, s26
	s_addc_u32 s27, s11, s27
	s_cmp_eq_u64 s[10:11], 0
	v_cndmask_b32_e32 v9, v9, v14, vcc_lo
	s_cselect_b32 s7, s7, s27
	s_cselect_b32 s6, s6, s26
	s_mul_i32 s26, s4, s22
	s_load_dwordx2 s[10:11], s[6:7], 0x0
	s_mul_hi_u32 s27, s4, s23
	v_lshlrev_b32_e32 v22, 2, v9
	s_mul_i32 s28, s5, s23
	s_waitcnt lgkmcnt(0)
	s_sub_u32 s6, s10, s16
	s_subb_u32 s7, s11, 0
	s_cmp_lg_u32 s25, 0
	v_cmp_lt_i64_e64 s20, s[20:21], s[10:11]
	s_cselect_b32 s21, -1, 0
	s_add_i32 s10, s27, s26
	s_mul_i32 s25, s4, s23
	s_add_i32 s26, s10, s28
	s_lshl_b32 s27, s3, 5
	s_branch .LBB17_10
.LBB17_9:                               ;   in Loop: Header=BB17_10 Depth=1
	s_or_b32 exec_lo, exec_lo, s10
	v_add_nc_u32_e32 v5, 32, v5
	v_add_nc_u32_e32 v0, s27, v0
	v_cmp_le_i32_e32 vcc_lo, s3, v5
	s_or_b32 s17, vcc_lo, s17
	s_andn2_b32 exec_lo, exec_lo, s17
	s_cbranch_execz .LBB17_26
.LBB17_10:                              ; =>This Loop Header: Depth=1
                                        ;     Child Loop BB17_14 Depth 2
                                        ;       Child Loop BB17_17 Depth 3
	v_mov_b32_e32 v9, 0
	v_mov_b32_e32 v10, 0
	s_andn2_b32 vcc_lo, exec_lo, s20
	s_cbranch_vccnz .LBB17_21
; %bb.11:                               ;   in Loop: Header=BB17_10 Depth=1
	s_waitcnt lgkmcnt(1)
	v_ashrrev_i32_e32 v11, 31, v0
	v_add_co_u32 v23, vcc_lo, s25, v0
	v_mov_b32_e32 v9, 0
	v_mov_b32_e32 v10, 0
	v_add_co_ci_u32_e64 v24, null, s26, v11, vcc_lo
	s_mov_b64 s[10:11], s[4:5]
	s_branch .LBB17_14
.LBB17_12:                              ;   in Loop: Header=BB17_14 Depth=2
	s_inst_prefetch 0x2
	s_or_b32 exec_lo, exec_lo, s29
.LBB17_13:                              ;   in Loop: Header=BB17_14 Depth=2
	s_or_b32 exec_lo, exec_lo, s28
	s_add_u32 s10, s10, 1
	s_addc_u32 s11, s11, 0
	v_add_co_u32 v23, vcc_lo, v23, s23
	v_cmp_ge_i64_e64 s28, s[10:11], s[6:7]
	v_add_co_ci_u32_e64 v24, null, s22, v24, vcc_lo
	s_and_b32 vcc_lo, exec_lo, s28
	s_cbranch_vccnz .LBB17_21
.LBB17_14:                              ;   Parent Loop BB17_10 Depth=1
                                        ; =>  This Loop Header: Depth=2
                                        ;       Child Loop BB17_17 Depth 3
	s_and_saveexec_b32 s28, s1
	s_cbranch_execz .LBB17_13
; %bb.15:                               ;   in Loop: Header=BB17_14 Depth=2
	s_lshl_b64 s[30:31], s[10:11], 2
	s_waitcnt lgkmcnt(0)
	v_mad_u64_u32 v[11:12], null, s23, s10, v[5:6]
	s_add_u32 s30, s12, s30
	s_addc_u32 s31, s13, s31
	v_mov_b32_e32 v14, v8
	s_load_dword s29, s[30:31], 0x0
	s_mul_i32 s30, s22, s10
	s_mul_i32 s31, s23, s11
	v_mov_b32_e32 v25, v17
	v_mov_b32_e32 v13, v7
	v_add3_u32 v12, s31, s30, v12
	s_waitcnt lgkmcnt(0)
	s_sub_i32 s29, s29, s16
	s_mul_i32 s30, s29, s3
	s_mov_b32 s29, 0
	s_inst_prefetch 0x1
	s_branch .LBB17_17
	.p2align	6
.LBB17_16:                              ;   in Loop: Header=BB17_17 Depth=3
	v_add_nc_u32_e32 v26, s30, v13
	v_lshlrev_b64 v[15:16], 3, v[15:16]
	v_add_nc_u32_e32 v25, s27, v25
	v_ashrrev_i32_e32 v27, 31, v26
	v_add_co_u32 v15, vcc_lo, s14, v15
	v_add_co_ci_u32_e64 v16, null, s15, v16, vcc_lo
	v_lshlrev_b64 v[26:27], 3, v[26:27]
	v_add_co_u32 v26, vcc_lo, s18, v26
	v_add_co_ci_u32_e64 v27, null, s19, v27, vcc_lo
	v_add_co_u32 v13, vcc_lo, v13, 32
	global_load_dwordx2 v[15:16], v[15:16], off
	global_load_dwordx2 v[26:27], v[26:27], off
	v_add_co_ci_u32_e64 v14, null, 0, v14, vcc_lo
	v_cmp_le_i32_e32 vcc_lo, s3, v13
	s_or_b32 s29, vcc_lo, s29
	s_waitcnt vmcnt(0)
	v_fma_f64 v[9:10], v[15:16], v[26:27], v[9:10]
	s_andn2_b32 exec_lo, exec_lo, s29
	s_cbranch_execz .LBB17_12
.LBB17_17:                              ;   Parent Loop BB17_10 Depth=1
                                        ;     Parent Loop BB17_14 Depth=2
                                        ; =>    This Inner Loop Header: Depth=3
	s_and_b32 vcc_lo, exec_lo, s21
	s_cbranch_vccz .LBB17_19
; %bb.18:                               ;   in Loop: Header=BB17_17 Depth=3
	v_ashrrev_i32_e32 v16, 31, v25
	v_add_co_u32 v15, vcc_lo, v11, v25
	v_add_co_ci_u32_e64 v16, null, v12, v16, vcc_lo
	s_cbranch_execnz .LBB17_16
	s_branch .LBB17_20
.LBB17_19:                              ;   in Loop: Header=BB17_17 Depth=3
                                        ; implicit-def: $vgpr15_vgpr16
.LBB17_20:                              ;   in Loop: Header=BB17_17 Depth=3
	v_add_co_u32 v15, vcc_lo, v23, v13
	v_add_co_ci_u32_e64 v16, null, v24, v14, vcc_lo
	s_branch .LBB17_16
.LBB17_21:                              ;   in Loop: Header=BB17_10 Depth=1
	s_waitcnt lgkmcnt(1)
	ds_bpermute_b32 v11, v18, v9
	s_waitcnt lgkmcnt(1)
	ds_bpermute_b32 v12, v18, v10
	s_waitcnt lgkmcnt(0)
	v_add_f64 v[9:10], v[9:10], v[11:12]
	ds_bpermute_b32 v11, v19, v9
	ds_bpermute_b32 v12, v19, v10
	s_waitcnt lgkmcnt(0)
	v_add_f64 v[9:10], v[9:10], v[11:12]
	ds_bpermute_b32 v11, v20, v9
	ds_bpermute_b32 v12, v20, v10
	s_waitcnt lgkmcnt(0)
	v_add_f64 v[9:10], v[9:10], v[11:12]
	ds_bpermute_b32 v11, v21, v9
	ds_bpermute_b32 v12, v21, v10
	s_waitcnt lgkmcnt(0)
	v_add_f64 v[9:10], v[9:10], v[11:12]
	ds_bpermute_b32 v11, v22, v9
	ds_bpermute_b32 v12, v22, v10
	s_and_saveexec_b32 s10, s2
	s_cbranch_execz .LBB17_9
; %bb.22:                               ;   in Loop: Header=BB17_10 Depth=1
	s_waitcnt lgkmcnt(0)
	v_add_f64 v[9:10], v[9:10], v[11:12]
	v_add_nc_u32_e32 v11, s24, v5
	v_ashrrev_i32_e32 v12, 31, v11
	v_mul_f64 v[9:10], v[1:2], v[9:10]
	s_and_saveexec_b32 s11, s0
	s_xor_b32 s11, exec_lo, s11
	s_cbranch_execz .LBB17_24
; %bb.23:                               ;   in Loop: Header=BB17_10 Depth=1
	v_lshlrev_b64 v[11:12], 3, v[11:12]
	v_add_co_u32 v11, vcc_lo, s8, v11
	v_add_co_ci_u32_e64 v12, null, s9, v12, vcc_lo
	global_store_dwordx2 v[11:12], v[9:10], off
                                        ; implicit-def: $vgpr11
                                        ; implicit-def: $vgpr9_vgpr10
.LBB17_24:                              ;   in Loop: Header=BB17_10 Depth=1
	s_andn2_saveexec_b32 s11, s11
	s_cbranch_execz .LBB17_9
; %bb.25:                               ;   in Loop: Header=BB17_10 Depth=1
	v_lshlrev_b64 v[11:12], 3, v[11:12]
	v_add_co_u32 v11, vcc_lo, s8, v11
	v_add_co_ci_u32_e64 v12, null, s9, v12, vcc_lo
	global_load_dwordx2 v[13:14], v[11:12], off
	s_waitcnt vmcnt(0)
	v_fma_f64 v[9:10], v[3:4], v[13:14], v[9:10]
	global_store_dwordx2 v[11:12], v[9:10], off
	s_branch .LBB17_9
.LBB17_26:
	s_endpgm
	.section	.rodata,"a",@progbits
	.p2align	6, 0x0
	.amdhsa_kernel _ZN9rocsparseL22bsrxmvn_general_kernelILj1024ELj32EdlidddEEv20rocsparse_direction_NS_24const_host_device_scalarIT1_EET3_PKS5_PKT2_SA_S7_PKT4_S5_PKT5_S4_PT6_21rocsparse_index_base_b
		.amdhsa_group_segment_fixed_size 0
		.amdhsa_private_segment_fixed_size 0
		.amdhsa_kernarg_size 104
		.amdhsa_user_sgpr_count 6
		.amdhsa_user_sgpr_private_segment_buffer 1
		.amdhsa_user_sgpr_dispatch_ptr 0
		.amdhsa_user_sgpr_queue_ptr 0
		.amdhsa_user_sgpr_kernarg_segment_ptr 1
		.amdhsa_user_sgpr_dispatch_id 0
		.amdhsa_user_sgpr_flat_scratch_init 0
		.amdhsa_user_sgpr_private_segment_size 0
		.amdhsa_wavefront_size32 1
		.amdhsa_uses_dynamic_stack 0
		.amdhsa_system_sgpr_private_segment_wavefront_offset 0
		.amdhsa_system_sgpr_workgroup_id_x 1
		.amdhsa_system_sgpr_workgroup_id_y 0
		.amdhsa_system_sgpr_workgroup_id_z 0
		.amdhsa_system_sgpr_workgroup_info 0
		.amdhsa_system_vgpr_workitem_id 0
		.amdhsa_next_free_vgpr 28
		.amdhsa_next_free_sgpr 32
		.amdhsa_reserve_vcc 1
		.amdhsa_reserve_flat_scratch 0
		.amdhsa_float_round_mode_32 0
		.amdhsa_float_round_mode_16_64 0
		.amdhsa_float_denorm_mode_32 3
		.amdhsa_float_denorm_mode_16_64 3
		.amdhsa_dx10_clamp 1
		.amdhsa_ieee_mode 1
		.amdhsa_fp16_overflow 0
		.amdhsa_workgroup_processor_mode 1
		.amdhsa_memory_ordered 1
		.amdhsa_forward_progress 1
		.amdhsa_shared_vgpr_count 0
		.amdhsa_exception_fp_ieee_invalid_op 0
		.amdhsa_exception_fp_denorm_src 0
		.amdhsa_exception_fp_ieee_div_zero 0
		.amdhsa_exception_fp_ieee_overflow 0
		.amdhsa_exception_fp_ieee_underflow 0
		.amdhsa_exception_fp_ieee_inexact 0
		.amdhsa_exception_int_div_zero 0
	.end_amdhsa_kernel
	.section	.text._ZN9rocsparseL22bsrxmvn_general_kernelILj1024ELj32EdlidddEEv20rocsparse_direction_NS_24const_host_device_scalarIT1_EET3_PKS5_PKT2_SA_S7_PKT4_S5_PKT5_S4_PT6_21rocsparse_index_base_b,"axG",@progbits,_ZN9rocsparseL22bsrxmvn_general_kernelILj1024ELj32EdlidddEEv20rocsparse_direction_NS_24const_host_device_scalarIT1_EET3_PKS5_PKT2_SA_S7_PKT4_S5_PKT5_S4_PT6_21rocsparse_index_base_b,comdat
.Lfunc_end17:
	.size	_ZN9rocsparseL22bsrxmvn_general_kernelILj1024ELj32EdlidddEEv20rocsparse_direction_NS_24const_host_device_scalarIT1_EET3_PKS5_PKT2_SA_S7_PKT4_S5_PKT5_S4_PT6_21rocsparse_index_base_b, .Lfunc_end17-_ZN9rocsparseL22bsrxmvn_general_kernelILj1024ELj32EdlidddEEv20rocsparse_direction_NS_24const_host_device_scalarIT1_EET3_PKS5_PKT2_SA_S7_PKT4_S5_PKT5_S4_PT6_21rocsparse_index_base_b
                                        ; -- End function
	.set _ZN9rocsparseL22bsrxmvn_general_kernelILj1024ELj32EdlidddEEv20rocsparse_direction_NS_24const_host_device_scalarIT1_EET3_PKS5_PKT2_SA_S7_PKT4_S5_PKT5_S4_PT6_21rocsparse_index_base_b.num_vgpr, 28
	.set _ZN9rocsparseL22bsrxmvn_general_kernelILj1024ELj32EdlidddEEv20rocsparse_direction_NS_24const_host_device_scalarIT1_EET3_PKS5_PKT2_SA_S7_PKT4_S5_PKT5_S4_PT6_21rocsparse_index_base_b.num_agpr, 0
	.set _ZN9rocsparseL22bsrxmvn_general_kernelILj1024ELj32EdlidddEEv20rocsparse_direction_NS_24const_host_device_scalarIT1_EET3_PKS5_PKT2_SA_S7_PKT4_S5_PKT5_S4_PT6_21rocsparse_index_base_b.numbered_sgpr, 32
	.set _ZN9rocsparseL22bsrxmvn_general_kernelILj1024ELj32EdlidddEEv20rocsparse_direction_NS_24const_host_device_scalarIT1_EET3_PKS5_PKT2_SA_S7_PKT4_S5_PKT5_S4_PT6_21rocsparse_index_base_b.num_named_barrier, 0
	.set _ZN9rocsparseL22bsrxmvn_general_kernelILj1024ELj32EdlidddEEv20rocsparse_direction_NS_24const_host_device_scalarIT1_EET3_PKS5_PKT2_SA_S7_PKT4_S5_PKT5_S4_PT6_21rocsparse_index_base_b.private_seg_size, 0
	.set _ZN9rocsparseL22bsrxmvn_general_kernelILj1024ELj32EdlidddEEv20rocsparse_direction_NS_24const_host_device_scalarIT1_EET3_PKS5_PKT2_SA_S7_PKT4_S5_PKT5_S4_PT6_21rocsparse_index_base_b.uses_vcc, 1
	.set _ZN9rocsparseL22bsrxmvn_general_kernelILj1024ELj32EdlidddEEv20rocsparse_direction_NS_24const_host_device_scalarIT1_EET3_PKS5_PKT2_SA_S7_PKT4_S5_PKT5_S4_PT6_21rocsparse_index_base_b.uses_flat_scratch, 0
	.set _ZN9rocsparseL22bsrxmvn_general_kernelILj1024ELj32EdlidddEEv20rocsparse_direction_NS_24const_host_device_scalarIT1_EET3_PKS5_PKT2_SA_S7_PKT4_S5_PKT5_S4_PT6_21rocsparse_index_base_b.has_dyn_sized_stack, 0
	.set _ZN9rocsparseL22bsrxmvn_general_kernelILj1024ELj32EdlidddEEv20rocsparse_direction_NS_24const_host_device_scalarIT1_EET3_PKS5_PKT2_SA_S7_PKT4_S5_PKT5_S4_PT6_21rocsparse_index_base_b.has_recursion, 0
	.set _ZN9rocsparseL22bsrxmvn_general_kernelILj1024ELj32EdlidddEEv20rocsparse_direction_NS_24const_host_device_scalarIT1_EET3_PKS5_PKT2_SA_S7_PKT4_S5_PKT5_S4_PT6_21rocsparse_index_base_b.has_indirect_call, 0
	.section	.AMDGPU.csdata,"",@progbits
; Kernel info:
; codeLenInByte = 1292
; TotalNumSgprs: 34
; NumVgprs: 28
; ScratchSize: 0
; MemoryBound: 0
; FloatMode: 240
; IeeeMode: 1
; LDSByteSize: 0 bytes/workgroup (compile time only)
; SGPRBlocks: 0
; VGPRBlocks: 3
; NumSGPRsForWavesPerEU: 34
; NumVGPRsForWavesPerEU: 28
; Occupancy: 16
; WaveLimiterHint : 1
; COMPUTE_PGM_RSRC2:SCRATCH_EN: 0
; COMPUTE_PGM_RSRC2:USER_SGPR: 6
; COMPUTE_PGM_RSRC2:TRAP_HANDLER: 0
; COMPUTE_PGM_RSRC2:TGID_X_EN: 1
; COMPUTE_PGM_RSRC2:TGID_Y_EN: 0
; COMPUTE_PGM_RSRC2:TGID_Z_EN: 0
; COMPUTE_PGM_RSRC2:TIDIG_COMP_CNT: 0
	.section	.text._ZN9rocsparseL22bsrxmvn_general_kernelILj64ELj8E21rocsparse_complex_numIfEliS2_S2_S2_EEv20rocsparse_direction_NS_24const_host_device_scalarIT1_EET3_PKS7_PKT2_SC_S9_PKT4_S7_PKT5_S6_PT6_21rocsparse_index_base_b,"axG",@progbits,_ZN9rocsparseL22bsrxmvn_general_kernelILj64ELj8E21rocsparse_complex_numIfEliS2_S2_S2_EEv20rocsparse_direction_NS_24const_host_device_scalarIT1_EET3_PKS7_PKT2_SC_S9_PKT4_S7_PKT5_S6_PT6_21rocsparse_index_base_b,comdat
	.globl	_ZN9rocsparseL22bsrxmvn_general_kernelILj64ELj8E21rocsparse_complex_numIfEliS2_S2_S2_EEv20rocsparse_direction_NS_24const_host_device_scalarIT1_EET3_PKS7_PKT2_SC_S9_PKT4_S7_PKT5_S6_PT6_21rocsparse_index_base_b ; -- Begin function _ZN9rocsparseL22bsrxmvn_general_kernelILj64ELj8E21rocsparse_complex_numIfEliS2_S2_S2_EEv20rocsparse_direction_NS_24const_host_device_scalarIT1_EET3_PKS7_PKT2_SC_S9_PKT4_S7_PKT5_S6_PT6_21rocsparse_index_base_b
	.p2align	8
	.type	_ZN9rocsparseL22bsrxmvn_general_kernelILj64ELj8E21rocsparse_complex_numIfEliS2_S2_S2_EEv20rocsparse_direction_NS_24const_host_device_scalarIT1_EET3_PKS7_PKT2_SC_S9_PKT4_S7_PKT5_S6_PT6_21rocsparse_index_base_b,@function
_ZN9rocsparseL22bsrxmvn_general_kernelILj64ELj8E21rocsparse_complex_numIfEliS2_S2_S2_EEv20rocsparse_direction_NS_24const_host_device_scalarIT1_EET3_PKS7_PKT2_SC_S9_PKT4_S7_PKT5_S6_PT6_21rocsparse_index_base_b: ; @_ZN9rocsparseL22bsrxmvn_general_kernelILj64ELj8E21rocsparse_complex_numIfEliS2_S2_S2_EEv20rocsparse_direction_NS_24const_host_device_scalarIT1_EET3_PKS7_PKT2_SC_S9_PKT4_S7_PKT5_S6_PT6_21rocsparse_index_base_b
; %bb.0:
	s_clause 0x2
	s_load_dwordx2 s[16:17], s[4:5], 0x60
	s_load_dwordx2 s[0:1], s[4:5], 0x8
	;; [unrolled: 1-line block ×3, first 2 shown]
	s_add_u32 s7, s4, 8
	s_addc_u32 s8, s5, 0
	s_add_u32 s9, s4, 0x50
	s_addc_u32 s10, s5, 0
	s_waitcnt lgkmcnt(0)
	s_bitcmp1_b32 s17, 0
	s_cselect_b32 s0, s7, s0
	s_cselect_b32 s1, s8, s1
	v_mov_b32_e32 v1, s0
	v_mov_b32_e32 v2, s1
	s_cselect_b32 s0, s9, s2
	s_cselect_b32 s1, s10, s3
	v_mov_b32_e32 v3, s0
	v_mov_b32_e32 v4, s1
	flat_load_dwordx2 v[1:2], v[1:2]
	flat_load_dwordx2 v[3:4], v[3:4]
	s_waitcnt vmcnt(1) lgkmcnt(1)
	v_cmp_eq_f32_e32 vcc_lo, 0, v1
	v_cmp_eq_f32_e64 s0, 0, v2
	s_and_b32 s2, vcc_lo, s0
	s_mov_b32 s0, -1
	s_and_saveexec_b32 s1, s2
	s_cbranch_execz .LBB18_2
; %bb.1:
	s_waitcnt vmcnt(0) lgkmcnt(0)
	v_cmp_neq_f32_e32 vcc_lo, 1.0, v3
	v_cmp_neq_f32_e64 s0, 0, v4
	s_or_b32 s0, vcc_lo, s0
	s_orn2_b32 s0, s0, exec_lo
.LBB18_2:
	s_or_b32 exec_lo, exec_lo, s1
	s_and_saveexec_b32 s1, s0
	s_cbranch_execz .LBB18_24
; %bb.3:
	s_load_dwordx2 s[0:1], s[4:5], 0x18
	s_waitcnt lgkmcnt(0)
	s_cmp_eq_u64 s[0:1], 0
	s_cbranch_scc1 .LBB18_5
; %bb.4:
	s_ashr_i32 s7, s6, 31
	s_lshl_b64 s[2:3], s[6:7], 2
	s_add_u32 s0, s0, s2
	s_addc_u32 s1, s1, s3
	s_load_dword s0, s[0:1], 0x0
	s_waitcnt lgkmcnt(0)
	s_sub_i32 s6, s0, s16
.LBB18_5:
	s_load_dword s17, s[4:5], 0x40
	v_lshrrev_b32_e32 v5, 3, v0
	s_waitcnt lgkmcnt(0)
	v_cmp_gt_i32_e32 vcc_lo, s17, v5
	s_and_b32 exec_lo, exec_lo, vcc_lo
	s_cbranch_execz .LBB18_24
; %bb.6:
	s_load_dwordx8 s[8:15], s[4:5], 0x20
	s_ashr_i32 s7, s6, 31
	s_load_dword s3, s[4:5], 0x0
	s_lshl_b64 s[0:1], s[6:7], 3
	s_mul_i32 s23, s6, s17
	v_mbcnt_lo_u32_b32 v6, -1, 0
	v_and_b32_e32 v7, 7, v0
	s_mul_hi_u32 s21, s17, s17
	s_mul_i32 s22, s17, s17
	v_mul_lo_u32 v0, s17, v5
	v_xor_b32_e32 v9, 4, v6
	v_xor_b32_e32 v10, 2, v6
	;; [unrolled: 1-line block ×3, first 2 shown]
	v_mul_lo_u32 v15, s17, v7
	s_waitcnt vmcnt(0)
	v_cmp_eq_f32_e32 vcc_lo, 0, v3
	v_cmp_eq_f32_e64 s2, 0, v4
	v_mov_b32_e32 v8, 0
	s_mov_b32 s20, 0
	s_waitcnt lgkmcnt(0)
	s_add_u32 s24, s8, s0
	s_addc_u32 s25, s9, s1
	s_load_dwordx2 s[26:27], s[24:25], 0x0
	s_clause 0x1
	s_load_dwordx2 s[8:9], s[4:5], 0x58
	s_load_dwordx2 s[18:19], s[4:5], 0x48
	s_waitcnt lgkmcnt(0)
	s_sub_u32 s4, s26, s16
	s_subb_u32 s5, s27, 0
	s_add_u32 s6, s24, 8
	s_addc_u32 s7, s25, 0
	s_add_u32 s0, s10, s0
	s_addc_u32 s1, s11, s1
	s_cmp_eq_u64 s[10:11], 0
	s_mul_i32 s28, s4, s21
	s_cselect_b32 s1, s7, s1
	s_cselect_b32 s0, s6, s0
	s_mul_hi_u32 s29, s4, s22
	s_load_dwordx2 s[24:25], s[0:1], 0x0
	v_cmp_gt_i32_e64 s1, 32, v9
	v_cmp_gt_u32_e64 s0, s17, v7
	s_mul_i32 s30, s5, s22
	s_mul_i32 s10, s4, s22
	v_cndmask_b32_e64 v9, v6, v9, s1
	v_cmp_gt_i32_e64 s1, 32, v10
	v_lshlrev_b32_e32 v16, 2, v9
	v_cndmask_b32_e64 v10, v6, v10, s1
	v_cmp_gt_i32_e64 s1, 32, v11
	v_lshlrev_b32_e32 v17, 2, v10
	v_cndmask_b32_e64 v6, v6, v11, s1
	v_cmp_eq_u32_e64 s1, 7, v7
	s_waitcnt lgkmcnt(0)
	s_sub_u32 s6, s24, s16
	s_subb_u32 s7, s25, 0
	s_cmp_lg_u32 s3, 0
	v_cmp_lt_i64_e64 s11, s[26:27], s[24:25]
	v_lshlrev_b32_e32 v18, 2, v6
	s_cselect_b32 s24, -1, 0
	s_add_i32 s3, s29, s28
	s_and_b32 s25, vcc_lo, s2
	s_add_i32 s26, s3, s30
	s_lshl_b32 s27, s17, 3
	s_branch .LBB18_8
.LBB18_7:                               ;   in Loop: Header=BB18_8 Depth=1
	s_or_b32 exec_lo, exec_lo, s2
	v_add_nc_u32_e32 v5, 8, v5
	v_add_nc_u32_e32 v0, s27, v0
	v_cmp_le_i32_e32 vcc_lo, s17, v5
	s_or_b32 s20, vcc_lo, s20
	s_andn2_b32 exec_lo, exec_lo, s20
	s_cbranch_execz .LBB18_24
.LBB18_8:                               ; =>This Loop Header: Depth=1
                                        ;     Child Loop BB18_12 Depth 2
                                        ;       Child Loop BB18_15 Depth 3
	v_mov_b32_e32 v19, 0
	v_mov_b32_e32 v20, 0
	s_andn2_b32 vcc_lo, exec_lo, s11
	s_cbranch_vccnz .LBB18_19
; %bb.9:                                ;   in Loop: Header=BB18_8 Depth=1
	s_waitcnt lgkmcnt(1)
	v_ashrrev_i32_e32 v9, 31, v0
	v_add_co_u32 v21, vcc_lo, s10, v0
	v_ashrrev_i32_e32 v6, 31, v5
	v_mov_b32_e32 v19, 0
	v_add_co_ci_u32_e64 v22, null, s26, v9, vcc_lo
	v_mov_b32_e32 v20, 0
	s_mov_b64 s[2:3], s[4:5]
	s_branch .LBB18_12
.LBB18_10:                              ;   in Loop: Header=BB18_12 Depth=2
	s_or_b32 exec_lo, exec_lo, s29
.LBB18_11:                              ;   in Loop: Header=BB18_12 Depth=2
	s_or_b32 exec_lo, exec_lo, s28
	s_add_u32 s2, s2, 1
	s_addc_u32 s3, s3, 0
	v_add_co_u32 v21, vcc_lo, v21, s22
	v_cmp_ge_i64_e64 s28, s[2:3], s[6:7]
	v_add_co_ci_u32_e64 v22, null, s21, v22, vcc_lo
	s_and_b32 vcc_lo, exec_lo, s28
	s_cbranch_vccnz .LBB18_19
.LBB18_12:                              ;   Parent Loop BB18_8 Depth=1
                                        ; =>  This Loop Header: Depth=2
                                        ;       Child Loop BB18_15 Depth 3
	s_and_saveexec_b32 s28, s0
	s_cbranch_execz .LBB18_11
; %bb.13:                               ;   in Loop: Header=BB18_12 Depth=2
	s_lshl_b64 s[30:31], s[2:3], 2
	v_mad_u64_u32 v[9:10], null, s22, s2, v[5:6]
	s_add_u32 s30, s12, s30
	s_addc_u32 s31, s13, s31
	s_waitcnt lgkmcnt(0)
	v_mov_b32_e32 v12, v8
	s_load_dword s29, s[30:31], 0x0
	s_mul_i32 s30, s21, s2
	s_mul_i32 s31, s22, s3
	v_mov_b32_e32 v23, v15
	v_mov_b32_e32 v11, v7
	v_add3_u32 v10, s31, s30, v10
	s_waitcnt lgkmcnt(0)
	s_sub_i32 s29, s29, s16
	s_mul_i32 s30, s29, s17
	s_mov_b32 s29, 0
	s_branch .LBB18_15
.LBB18_14:                              ;   in Loop: Header=BB18_15 Depth=3
	v_add_nc_u32_e32 v24, s30, v11
	v_lshlrev_b64 v[13:14], 3, v[13:14]
	v_add_nc_u32_e32 v23, s27, v23
	v_ashrrev_i32_e32 v25, 31, v24
	v_add_co_u32 v13, vcc_lo, s14, v13
	v_add_co_ci_u32_e64 v14, null, s15, v14, vcc_lo
	v_lshlrev_b64 v[24:25], 3, v[24:25]
	v_add_co_u32 v24, vcc_lo, s18, v24
	v_add_co_ci_u32_e64 v25, null, s19, v25, vcc_lo
	v_add_co_u32 v11, vcc_lo, v11, 8
	global_load_dwordx2 v[13:14], v[13:14], off
	global_load_dwordx2 v[24:25], v[24:25], off
	v_add_co_ci_u32_e64 v12, null, 0, v12, vcc_lo
	v_cmp_le_i32_e32 vcc_lo, s17, v11
	s_or_b32 s29, vcc_lo, s29
	s_waitcnt vmcnt(0)
	v_fmac_f32_e32 v20, v13, v24
	v_fmac_f32_e32 v19, v14, v24
	v_fma_f32 v20, -v14, v25, v20
	v_fmac_f32_e32 v19, v13, v25
	s_andn2_b32 exec_lo, exec_lo, s29
	s_cbranch_execz .LBB18_10
.LBB18_15:                              ;   Parent Loop BB18_8 Depth=1
                                        ;     Parent Loop BB18_12 Depth=2
                                        ; =>    This Inner Loop Header: Depth=3
	s_and_b32 vcc_lo, exec_lo, s24
	s_cbranch_vccz .LBB18_17
; %bb.16:                               ;   in Loop: Header=BB18_15 Depth=3
	v_ashrrev_i32_e32 v14, 31, v23
	v_add_co_u32 v13, vcc_lo, v9, v23
	v_add_co_ci_u32_e64 v14, null, v10, v14, vcc_lo
	s_cbranch_execnz .LBB18_14
	s_branch .LBB18_18
.LBB18_17:                              ;   in Loop: Header=BB18_15 Depth=3
                                        ; implicit-def: $vgpr13_vgpr14
.LBB18_18:                              ;   in Loop: Header=BB18_15 Depth=3
	v_add_co_u32 v13, vcc_lo, v21, v11
	v_add_co_ci_u32_e64 v14, null, v22, v12, vcc_lo
	s_branch .LBB18_14
.LBB18_19:                              ;   in Loop: Header=BB18_8 Depth=1
	ds_bpermute_b32 v6, v16, v20
	s_waitcnt lgkmcnt(2)
	ds_bpermute_b32 v9, v16, v19
	s_waitcnt lgkmcnt(1)
	v_add_f32_e32 v6, v20, v6
	s_waitcnt lgkmcnt(0)
	v_add_f32_e32 v9, v19, v9
	ds_bpermute_b32 v10, v17, v6
	ds_bpermute_b32 v11, v17, v9
	s_waitcnt lgkmcnt(1)
	v_add_f32_e32 v6, v6, v10
	s_waitcnt lgkmcnt(0)
	v_add_f32_e32 v10, v9, v11
	ds_bpermute_b32 v9, v18, v6
	ds_bpermute_b32 v11, v18, v10
	s_and_saveexec_b32 s2, s1
	s_cbranch_execz .LBB18_7
; %bb.20:                               ;   in Loop: Header=BB18_8 Depth=1
	s_waitcnt lgkmcnt(0)
	v_add_f32_e32 v10, v10, v11
	v_add_f32_e32 v6, v6, v9
	v_add_nc_u32_e32 v11, s23, v5
	v_mul_f32_e64 v9, v10, -v2
	v_mul_f32_e32 v10, v1, v10
	v_ashrrev_i32_e32 v12, 31, v11
	v_fmac_f32_e32 v9, v1, v6
	v_fmac_f32_e32 v10, v2, v6
	s_and_saveexec_b32 s3, s25
	s_xor_b32 s3, exec_lo, s3
	s_cbranch_execz .LBB18_22
; %bb.21:                               ;   in Loop: Header=BB18_8 Depth=1
	v_lshlrev_b64 v[11:12], 3, v[11:12]
	v_add_co_u32 v11, vcc_lo, s8, v11
	v_add_co_ci_u32_e64 v12, null, s9, v12, vcc_lo
	global_store_dwordx2 v[11:12], v[9:10], off
                                        ; implicit-def: $vgpr11
                                        ; implicit-def: $vgpr9
.LBB18_22:                              ;   in Loop: Header=BB18_8 Depth=1
	s_andn2_saveexec_b32 s3, s3
	s_cbranch_execz .LBB18_7
; %bb.23:                               ;   in Loop: Header=BB18_8 Depth=1
	v_lshlrev_b64 v[11:12], 3, v[11:12]
	v_add_co_u32 v11, vcc_lo, s8, v11
	v_add_co_ci_u32_e64 v12, null, s9, v12, vcc_lo
	global_load_dwordx2 v[13:14], v[11:12], off
	s_waitcnt vmcnt(0)
	v_fmac_f32_e32 v9, v3, v13
	v_fmac_f32_e32 v10, v4, v13
	v_fma_f32 v9, -v4, v14, v9
	v_fmac_f32_e32 v10, v3, v14
	global_store_dwordx2 v[11:12], v[9:10], off
	s_branch .LBB18_7
.LBB18_24:
	s_endpgm
	.section	.rodata,"a",@progbits
	.p2align	6, 0x0
	.amdhsa_kernel _ZN9rocsparseL22bsrxmvn_general_kernelILj64ELj8E21rocsparse_complex_numIfEliS2_S2_S2_EEv20rocsparse_direction_NS_24const_host_device_scalarIT1_EET3_PKS7_PKT2_SC_S9_PKT4_S7_PKT5_S6_PT6_21rocsparse_index_base_b
		.amdhsa_group_segment_fixed_size 0
		.amdhsa_private_segment_fixed_size 0
		.amdhsa_kernarg_size 104
		.amdhsa_user_sgpr_count 6
		.amdhsa_user_sgpr_private_segment_buffer 1
		.amdhsa_user_sgpr_dispatch_ptr 0
		.amdhsa_user_sgpr_queue_ptr 0
		.amdhsa_user_sgpr_kernarg_segment_ptr 1
		.amdhsa_user_sgpr_dispatch_id 0
		.amdhsa_user_sgpr_flat_scratch_init 0
		.amdhsa_user_sgpr_private_segment_size 0
		.amdhsa_wavefront_size32 1
		.amdhsa_uses_dynamic_stack 0
		.amdhsa_system_sgpr_private_segment_wavefront_offset 0
		.amdhsa_system_sgpr_workgroup_id_x 1
		.amdhsa_system_sgpr_workgroup_id_y 0
		.amdhsa_system_sgpr_workgroup_id_z 0
		.amdhsa_system_sgpr_workgroup_info 0
		.amdhsa_system_vgpr_workitem_id 0
		.amdhsa_next_free_vgpr 26
		.amdhsa_next_free_sgpr 32
		.amdhsa_reserve_vcc 1
		.amdhsa_reserve_flat_scratch 0
		.amdhsa_float_round_mode_32 0
		.amdhsa_float_round_mode_16_64 0
		.amdhsa_float_denorm_mode_32 3
		.amdhsa_float_denorm_mode_16_64 3
		.amdhsa_dx10_clamp 1
		.amdhsa_ieee_mode 1
		.amdhsa_fp16_overflow 0
		.amdhsa_workgroup_processor_mode 1
		.amdhsa_memory_ordered 1
		.amdhsa_forward_progress 1
		.amdhsa_shared_vgpr_count 0
		.amdhsa_exception_fp_ieee_invalid_op 0
		.amdhsa_exception_fp_denorm_src 0
		.amdhsa_exception_fp_ieee_div_zero 0
		.amdhsa_exception_fp_ieee_overflow 0
		.amdhsa_exception_fp_ieee_underflow 0
		.amdhsa_exception_fp_ieee_inexact 0
		.amdhsa_exception_int_div_zero 0
	.end_amdhsa_kernel
	.section	.text._ZN9rocsparseL22bsrxmvn_general_kernelILj64ELj8E21rocsparse_complex_numIfEliS2_S2_S2_EEv20rocsparse_direction_NS_24const_host_device_scalarIT1_EET3_PKS7_PKT2_SC_S9_PKT4_S7_PKT5_S6_PT6_21rocsparse_index_base_b,"axG",@progbits,_ZN9rocsparseL22bsrxmvn_general_kernelILj64ELj8E21rocsparse_complex_numIfEliS2_S2_S2_EEv20rocsparse_direction_NS_24const_host_device_scalarIT1_EET3_PKS7_PKT2_SC_S9_PKT4_S7_PKT5_S6_PT6_21rocsparse_index_base_b,comdat
.Lfunc_end18:
	.size	_ZN9rocsparseL22bsrxmvn_general_kernelILj64ELj8E21rocsparse_complex_numIfEliS2_S2_S2_EEv20rocsparse_direction_NS_24const_host_device_scalarIT1_EET3_PKS7_PKT2_SC_S9_PKT4_S7_PKT5_S6_PT6_21rocsparse_index_base_b, .Lfunc_end18-_ZN9rocsparseL22bsrxmvn_general_kernelILj64ELj8E21rocsparse_complex_numIfEliS2_S2_S2_EEv20rocsparse_direction_NS_24const_host_device_scalarIT1_EET3_PKS7_PKT2_SC_S9_PKT4_S7_PKT5_S6_PT6_21rocsparse_index_base_b
                                        ; -- End function
	.set _ZN9rocsparseL22bsrxmvn_general_kernelILj64ELj8E21rocsparse_complex_numIfEliS2_S2_S2_EEv20rocsparse_direction_NS_24const_host_device_scalarIT1_EET3_PKS7_PKT2_SC_S9_PKT4_S7_PKT5_S6_PT6_21rocsparse_index_base_b.num_vgpr, 26
	.set _ZN9rocsparseL22bsrxmvn_general_kernelILj64ELj8E21rocsparse_complex_numIfEliS2_S2_S2_EEv20rocsparse_direction_NS_24const_host_device_scalarIT1_EET3_PKS7_PKT2_SC_S9_PKT4_S7_PKT5_S6_PT6_21rocsparse_index_base_b.num_agpr, 0
	.set _ZN9rocsparseL22bsrxmvn_general_kernelILj64ELj8E21rocsparse_complex_numIfEliS2_S2_S2_EEv20rocsparse_direction_NS_24const_host_device_scalarIT1_EET3_PKS7_PKT2_SC_S9_PKT4_S7_PKT5_S6_PT6_21rocsparse_index_base_b.numbered_sgpr, 32
	.set _ZN9rocsparseL22bsrxmvn_general_kernelILj64ELj8E21rocsparse_complex_numIfEliS2_S2_S2_EEv20rocsparse_direction_NS_24const_host_device_scalarIT1_EET3_PKS7_PKT2_SC_S9_PKT4_S7_PKT5_S6_PT6_21rocsparse_index_base_b.num_named_barrier, 0
	.set _ZN9rocsparseL22bsrxmvn_general_kernelILj64ELj8E21rocsparse_complex_numIfEliS2_S2_S2_EEv20rocsparse_direction_NS_24const_host_device_scalarIT1_EET3_PKS7_PKT2_SC_S9_PKT4_S7_PKT5_S6_PT6_21rocsparse_index_base_b.private_seg_size, 0
	.set _ZN9rocsparseL22bsrxmvn_general_kernelILj64ELj8E21rocsparse_complex_numIfEliS2_S2_S2_EEv20rocsparse_direction_NS_24const_host_device_scalarIT1_EET3_PKS7_PKT2_SC_S9_PKT4_S7_PKT5_S6_PT6_21rocsparse_index_base_b.uses_vcc, 1
	.set _ZN9rocsparseL22bsrxmvn_general_kernelILj64ELj8E21rocsparse_complex_numIfEliS2_S2_S2_EEv20rocsparse_direction_NS_24const_host_device_scalarIT1_EET3_PKS7_PKT2_SC_S9_PKT4_S7_PKT5_S6_PT6_21rocsparse_index_base_b.uses_flat_scratch, 0
	.set _ZN9rocsparseL22bsrxmvn_general_kernelILj64ELj8E21rocsparse_complex_numIfEliS2_S2_S2_EEv20rocsparse_direction_NS_24const_host_device_scalarIT1_EET3_PKS7_PKT2_SC_S9_PKT4_S7_PKT5_S6_PT6_21rocsparse_index_base_b.has_dyn_sized_stack, 0
	.set _ZN9rocsparseL22bsrxmvn_general_kernelILj64ELj8E21rocsparse_complex_numIfEliS2_S2_S2_EEv20rocsparse_direction_NS_24const_host_device_scalarIT1_EET3_PKS7_PKT2_SC_S9_PKT4_S7_PKT5_S6_PT6_21rocsparse_index_base_b.has_recursion, 0
	.set _ZN9rocsparseL22bsrxmvn_general_kernelILj64ELj8E21rocsparse_complex_numIfEliS2_S2_S2_EEv20rocsparse_direction_NS_24const_host_device_scalarIT1_EET3_PKS7_PKT2_SC_S9_PKT4_S7_PKT5_S6_PT6_21rocsparse_index_base_b.has_indirect_call, 0
	.section	.AMDGPU.csdata,"",@progbits
; Kernel info:
; codeLenInByte = 1248
; TotalNumSgprs: 34
; NumVgprs: 26
; ScratchSize: 0
; MemoryBound: 0
; FloatMode: 240
; IeeeMode: 1
; LDSByteSize: 0 bytes/workgroup (compile time only)
; SGPRBlocks: 0
; VGPRBlocks: 3
; NumSGPRsForWavesPerEU: 34
; NumVGPRsForWavesPerEU: 26
; Occupancy: 16
; WaveLimiterHint : 1
; COMPUTE_PGM_RSRC2:SCRATCH_EN: 0
; COMPUTE_PGM_RSRC2:USER_SGPR: 6
; COMPUTE_PGM_RSRC2:TRAP_HANDLER: 0
; COMPUTE_PGM_RSRC2:TGID_X_EN: 1
; COMPUTE_PGM_RSRC2:TGID_Y_EN: 0
; COMPUTE_PGM_RSRC2:TGID_Z_EN: 0
; COMPUTE_PGM_RSRC2:TIDIG_COMP_CNT: 0
	.section	.text._ZN9rocsparseL22bsrxmvn_general_kernelILj256ELj16E21rocsparse_complex_numIfEliS2_S2_S2_EEv20rocsparse_direction_NS_24const_host_device_scalarIT1_EET3_PKS7_PKT2_SC_S9_PKT4_S7_PKT5_S6_PT6_21rocsparse_index_base_b,"axG",@progbits,_ZN9rocsparseL22bsrxmvn_general_kernelILj256ELj16E21rocsparse_complex_numIfEliS2_S2_S2_EEv20rocsparse_direction_NS_24const_host_device_scalarIT1_EET3_PKS7_PKT2_SC_S9_PKT4_S7_PKT5_S6_PT6_21rocsparse_index_base_b,comdat
	.globl	_ZN9rocsparseL22bsrxmvn_general_kernelILj256ELj16E21rocsparse_complex_numIfEliS2_S2_S2_EEv20rocsparse_direction_NS_24const_host_device_scalarIT1_EET3_PKS7_PKT2_SC_S9_PKT4_S7_PKT5_S6_PT6_21rocsparse_index_base_b ; -- Begin function _ZN9rocsparseL22bsrxmvn_general_kernelILj256ELj16E21rocsparse_complex_numIfEliS2_S2_S2_EEv20rocsparse_direction_NS_24const_host_device_scalarIT1_EET3_PKS7_PKT2_SC_S9_PKT4_S7_PKT5_S6_PT6_21rocsparse_index_base_b
	.p2align	8
	.type	_ZN9rocsparseL22bsrxmvn_general_kernelILj256ELj16E21rocsparse_complex_numIfEliS2_S2_S2_EEv20rocsparse_direction_NS_24const_host_device_scalarIT1_EET3_PKS7_PKT2_SC_S9_PKT4_S7_PKT5_S6_PT6_21rocsparse_index_base_b,@function
_ZN9rocsparseL22bsrxmvn_general_kernelILj256ELj16E21rocsparse_complex_numIfEliS2_S2_S2_EEv20rocsparse_direction_NS_24const_host_device_scalarIT1_EET3_PKS7_PKT2_SC_S9_PKT4_S7_PKT5_S6_PT6_21rocsparse_index_base_b: ; @_ZN9rocsparseL22bsrxmvn_general_kernelILj256ELj16E21rocsparse_complex_numIfEliS2_S2_S2_EEv20rocsparse_direction_NS_24const_host_device_scalarIT1_EET3_PKS7_PKT2_SC_S9_PKT4_S7_PKT5_S6_PT6_21rocsparse_index_base_b
; %bb.0:
	s_clause 0x2
	s_load_dwordx2 s[16:17], s[4:5], 0x60
	s_load_dwordx2 s[0:1], s[4:5], 0x8
	;; [unrolled: 1-line block ×3, first 2 shown]
	s_add_u32 s7, s4, 8
	s_addc_u32 s8, s5, 0
	s_add_u32 s9, s4, 0x50
	s_addc_u32 s10, s5, 0
	s_waitcnt lgkmcnt(0)
	s_bitcmp1_b32 s17, 0
	s_cselect_b32 s0, s7, s0
	s_cselect_b32 s1, s8, s1
	v_mov_b32_e32 v1, s0
	v_mov_b32_e32 v2, s1
	s_cselect_b32 s0, s9, s2
	s_cselect_b32 s1, s10, s3
	v_mov_b32_e32 v3, s0
	v_mov_b32_e32 v4, s1
	flat_load_dwordx2 v[1:2], v[1:2]
	flat_load_dwordx2 v[3:4], v[3:4]
	s_waitcnt vmcnt(1) lgkmcnt(1)
	v_cmp_eq_f32_e32 vcc_lo, 0, v1
	v_cmp_eq_f32_e64 s0, 0, v2
	s_and_b32 s2, vcc_lo, s0
	s_mov_b32 s0, -1
	s_and_saveexec_b32 s1, s2
	s_cbranch_execz .LBB19_2
; %bb.1:
	s_waitcnt vmcnt(0) lgkmcnt(0)
	v_cmp_neq_f32_e32 vcc_lo, 1.0, v3
	v_cmp_neq_f32_e64 s0, 0, v4
	s_or_b32 s0, vcc_lo, s0
	s_orn2_b32 s0, s0, exec_lo
.LBB19_2:
	s_or_b32 exec_lo, exec_lo, s1
	s_and_saveexec_b32 s1, s0
	s_cbranch_execz .LBB19_24
; %bb.3:
	s_load_dwordx2 s[0:1], s[4:5], 0x18
	s_waitcnt lgkmcnt(0)
	s_cmp_eq_u64 s[0:1], 0
	s_cbranch_scc1 .LBB19_5
; %bb.4:
	s_ashr_i32 s7, s6, 31
	s_lshl_b64 s[2:3], s[6:7], 2
	s_add_u32 s0, s0, s2
	s_addc_u32 s1, s1, s3
	s_load_dword s0, s[0:1], 0x0
	s_waitcnt lgkmcnt(0)
	s_sub_i32 s6, s0, s16
.LBB19_5:
	s_load_dword s17, s[4:5], 0x40
	v_lshrrev_b32_e32 v5, 4, v0
	s_waitcnt lgkmcnt(0)
	v_cmp_gt_i32_e32 vcc_lo, s17, v5
	s_and_b32 exec_lo, exec_lo, vcc_lo
	s_cbranch_execz .LBB19_24
; %bb.6:
	s_load_dwordx8 s[8:15], s[4:5], 0x20
	s_ashr_i32 s7, s6, 31
	v_mbcnt_lo_u32_b32 v6, -1, 0
	s_lshl_b64 s[26:27], s[6:7], 3
	s_load_dword s30, s[4:5], 0x0
	s_mul_i32 s25, s6, s17
	v_and_b32_e32 v7, 15, v0
	v_xor_b32_e32 v9, 8, v6
	v_xor_b32_e32 v10, 4, v6
	;; [unrolled: 1-line block ×4, first 2 shown]
	s_mul_hi_u32 s23, s17, s17
	s_mul_i32 s24, s17, s17
	v_mul_lo_u32 v0, s17, v5
	v_mul_lo_u32 v15, s17, v7
	s_waitcnt vmcnt(0)
	v_cmp_eq_f32_e32 vcc_lo, 0, v3
	v_cmp_eq_f32_e64 s2, 0, v4
	v_mov_b32_e32 v8, 0
	v_cmp_gt_u32_e64 s0, s17, v7
	s_mov_b32 s22, 0
	s_waitcnt lgkmcnt(0)
	s_add_u32 s28, s8, s26
	s_addc_u32 s29, s9, s27
	s_load_dwordx2 s[20:21], s[28:29], 0x0
	s_clause 0x1
	s_load_dwordx2 s[8:9], s[4:5], 0x58
	s_load_dwordx2 s[18:19], s[4:5], 0x48
	s_waitcnt lgkmcnt(0)
	s_sub_u32 s4, s20, s16
	s_subb_u32 s5, s21, 0
	s_add_u32 s1, s28, 8
	s_addc_u32 s3, s29, 0
	s_add_u32 s6, s10, s26
	s_addc_u32 s7, s11, s27
	s_cmp_eq_u64 s[10:11], 0
	s_mul_hi_u32 s28, s4, s24
	s_cselect_b32 s7, s3, s7
	s_cselect_b32 s6, s1, s6
	v_cmp_gt_i32_e64 s3, 32, v9
	s_load_dwordx2 s[26:27], s[6:7], 0x0
	v_cmp_eq_u32_e64 s1, 15, v7
	s_mul_i32 s29, s5, s24
	s_mul_i32 s10, s4, s24
	v_cndmask_b32_e64 v9, v6, v9, s3
	v_cmp_gt_i32_e64 s3, 32, v10
	v_lshlrev_b32_e32 v16, 2, v9
	v_cndmask_b32_e64 v10, v6, v10, s3
	v_cmp_gt_i32_e64 s3, 32, v11
	v_lshlrev_b32_e32 v17, 2, v10
	v_cndmask_b32_e64 v11, v6, v11, s3
	v_cmp_gt_i32_e64 s3, 32, v12
	s_waitcnt lgkmcnt(0)
	s_sub_u32 s6, s26, s16
	s_subb_u32 s7, s27, 0
	v_cndmask_b32_e64 v6, v6, v12, s3
	s_mul_i32 s3, s4, s23
	s_cmp_lg_u32 s30, 0
	v_cmp_lt_i64_e64 s11, s[20:21], s[26:27]
	v_lshlrev_b32_e32 v18, 2, v11
	v_lshlrev_b32_e32 v19, 2, v6
	s_cselect_b32 s20, -1, 0
	s_add_i32 s3, s28, s3
	s_and_b32 s21, vcc_lo, s2
	s_add_i32 s26, s3, s29
	s_lshl_b32 s27, s17, 4
	s_branch .LBB19_8
.LBB19_7:                               ;   in Loop: Header=BB19_8 Depth=1
	s_or_b32 exec_lo, exec_lo, s2
	v_add_nc_u32_e32 v5, 16, v5
	v_add_nc_u32_e32 v0, s27, v0
	v_cmp_le_i32_e32 vcc_lo, s17, v5
	s_or_b32 s22, vcc_lo, s22
	s_andn2_b32 exec_lo, exec_lo, s22
	s_cbranch_execz .LBB19_24
.LBB19_8:                               ; =>This Loop Header: Depth=1
                                        ;     Child Loop BB19_12 Depth 2
                                        ;       Child Loop BB19_15 Depth 3
	v_mov_b32_e32 v20, 0
	v_mov_b32_e32 v21, 0
	s_andn2_b32 vcc_lo, exec_lo, s11
	s_cbranch_vccnz .LBB19_19
; %bb.9:                                ;   in Loop: Header=BB19_8 Depth=1
	s_waitcnt lgkmcnt(1)
	v_ashrrev_i32_e32 v9, 31, v0
	v_add_co_u32 v22, vcc_lo, s10, v0
	v_ashrrev_i32_e32 v6, 31, v5
	v_mov_b32_e32 v20, 0
	v_add_co_ci_u32_e64 v23, null, s26, v9, vcc_lo
	v_mov_b32_e32 v21, 0
	s_mov_b64 s[2:3], s[4:5]
	s_branch .LBB19_12
.LBB19_10:                              ;   in Loop: Header=BB19_12 Depth=2
	s_or_b32 exec_lo, exec_lo, s29
.LBB19_11:                              ;   in Loop: Header=BB19_12 Depth=2
	s_or_b32 exec_lo, exec_lo, s28
	s_add_u32 s2, s2, 1
	s_addc_u32 s3, s3, 0
	v_add_co_u32 v22, vcc_lo, v22, s24
	v_cmp_ge_i64_e64 s28, s[2:3], s[6:7]
	v_add_co_ci_u32_e64 v23, null, s23, v23, vcc_lo
	s_and_b32 vcc_lo, exec_lo, s28
	s_cbranch_vccnz .LBB19_19
.LBB19_12:                              ;   Parent Loop BB19_8 Depth=1
                                        ; =>  This Loop Header: Depth=2
                                        ;       Child Loop BB19_15 Depth 3
	s_and_saveexec_b32 s28, s0
	s_cbranch_execz .LBB19_11
; %bb.13:                               ;   in Loop: Header=BB19_12 Depth=2
	s_lshl_b64 s[30:31], s[2:3], 2
	v_mad_u64_u32 v[9:10], null, s24, s2, v[5:6]
	s_add_u32 s30, s12, s30
	s_addc_u32 s31, s13, s31
	s_waitcnt lgkmcnt(0)
	v_mov_b32_e32 v12, v8
	s_load_dword s29, s[30:31], 0x0
	s_mul_i32 s30, s23, s2
	s_mul_i32 s31, s24, s3
	v_mov_b32_e32 v24, v15
	v_mov_b32_e32 v11, v7
	v_add3_u32 v10, s31, s30, v10
	s_waitcnt lgkmcnt(0)
	s_sub_i32 s29, s29, s16
	s_mul_i32 s30, s29, s17
	s_mov_b32 s29, 0
	s_branch .LBB19_15
.LBB19_14:                              ;   in Loop: Header=BB19_15 Depth=3
	v_add_nc_u32_e32 v25, s30, v11
	v_lshlrev_b64 v[13:14], 3, v[13:14]
	v_add_nc_u32_e32 v24, s27, v24
	v_ashrrev_i32_e32 v26, 31, v25
	v_add_co_u32 v13, vcc_lo, s14, v13
	v_add_co_ci_u32_e64 v14, null, s15, v14, vcc_lo
	v_lshlrev_b64 v[25:26], 3, v[25:26]
	v_add_co_u32 v25, vcc_lo, s18, v25
	v_add_co_ci_u32_e64 v26, null, s19, v26, vcc_lo
	v_add_co_u32 v11, vcc_lo, v11, 16
	global_load_dwordx2 v[13:14], v[13:14], off
	global_load_dwordx2 v[25:26], v[25:26], off
	v_add_co_ci_u32_e64 v12, null, 0, v12, vcc_lo
	v_cmp_le_i32_e32 vcc_lo, s17, v11
	s_or_b32 s29, vcc_lo, s29
	s_waitcnt vmcnt(0)
	v_fmac_f32_e32 v21, v13, v25
	v_fmac_f32_e32 v20, v14, v25
	v_fma_f32 v21, -v14, v26, v21
	v_fmac_f32_e32 v20, v13, v26
	s_andn2_b32 exec_lo, exec_lo, s29
	s_cbranch_execz .LBB19_10
.LBB19_15:                              ;   Parent Loop BB19_8 Depth=1
                                        ;     Parent Loop BB19_12 Depth=2
                                        ; =>    This Inner Loop Header: Depth=3
	s_and_b32 vcc_lo, exec_lo, s20
	s_cbranch_vccz .LBB19_17
; %bb.16:                               ;   in Loop: Header=BB19_15 Depth=3
	v_ashrrev_i32_e32 v14, 31, v24
	v_add_co_u32 v13, vcc_lo, v9, v24
	v_add_co_ci_u32_e64 v14, null, v10, v14, vcc_lo
	s_cbranch_execnz .LBB19_14
	s_branch .LBB19_18
.LBB19_17:                              ;   in Loop: Header=BB19_15 Depth=3
                                        ; implicit-def: $vgpr13_vgpr14
.LBB19_18:                              ;   in Loop: Header=BB19_15 Depth=3
	v_add_co_u32 v13, vcc_lo, v22, v11
	v_add_co_ci_u32_e64 v14, null, v23, v12, vcc_lo
	s_branch .LBB19_14
.LBB19_19:                              ;   in Loop: Header=BB19_8 Depth=1
	ds_bpermute_b32 v6, v16, v21
	s_waitcnt lgkmcnt(2)
	ds_bpermute_b32 v9, v16, v20
	s_waitcnt lgkmcnt(1)
	v_add_f32_e32 v6, v21, v6
	s_waitcnt lgkmcnt(0)
	v_add_f32_e32 v9, v20, v9
	ds_bpermute_b32 v10, v17, v6
	ds_bpermute_b32 v11, v17, v9
	s_waitcnt lgkmcnt(1)
	v_add_f32_e32 v6, v6, v10
	s_waitcnt lgkmcnt(0)
	v_add_f32_e32 v9, v9, v11
	ds_bpermute_b32 v10, v18, v6
	;; [unrolled: 6-line block ×3, first 2 shown]
	ds_bpermute_b32 v11, v19, v10
	s_and_saveexec_b32 s2, s1
	s_cbranch_execz .LBB19_7
; %bb.20:                               ;   in Loop: Header=BB19_8 Depth=1
	s_waitcnt lgkmcnt(0)
	v_add_f32_e32 v10, v10, v11
	v_add_f32_e32 v6, v6, v9
	v_add_nc_u32_e32 v11, s25, v5
	v_mul_f32_e64 v9, v10, -v2
	v_mul_f32_e32 v10, v1, v10
	v_ashrrev_i32_e32 v12, 31, v11
	v_fmac_f32_e32 v9, v1, v6
	v_fmac_f32_e32 v10, v2, v6
	s_and_saveexec_b32 s3, s21
	s_xor_b32 s3, exec_lo, s3
	s_cbranch_execz .LBB19_22
; %bb.21:                               ;   in Loop: Header=BB19_8 Depth=1
	v_lshlrev_b64 v[11:12], 3, v[11:12]
	v_add_co_u32 v11, vcc_lo, s8, v11
	v_add_co_ci_u32_e64 v12, null, s9, v12, vcc_lo
	global_store_dwordx2 v[11:12], v[9:10], off
                                        ; implicit-def: $vgpr11
                                        ; implicit-def: $vgpr9
.LBB19_22:                              ;   in Loop: Header=BB19_8 Depth=1
	s_andn2_saveexec_b32 s3, s3
	s_cbranch_execz .LBB19_7
; %bb.23:                               ;   in Loop: Header=BB19_8 Depth=1
	v_lshlrev_b64 v[11:12], 3, v[11:12]
	v_add_co_u32 v11, vcc_lo, s8, v11
	v_add_co_ci_u32_e64 v12, null, s9, v12, vcc_lo
	global_load_dwordx2 v[13:14], v[11:12], off
	s_waitcnt vmcnt(0)
	v_fmac_f32_e32 v9, v3, v13
	v_fmac_f32_e32 v10, v4, v13
	v_fma_f32 v9, -v4, v14, v9
	v_fmac_f32_e32 v10, v3, v14
	global_store_dwordx2 v[11:12], v[9:10], off
	s_branch .LBB19_7
.LBB19_24:
	s_endpgm
	.section	.rodata,"a",@progbits
	.p2align	6, 0x0
	.amdhsa_kernel _ZN9rocsparseL22bsrxmvn_general_kernelILj256ELj16E21rocsparse_complex_numIfEliS2_S2_S2_EEv20rocsparse_direction_NS_24const_host_device_scalarIT1_EET3_PKS7_PKT2_SC_S9_PKT4_S7_PKT5_S6_PT6_21rocsparse_index_base_b
		.amdhsa_group_segment_fixed_size 0
		.amdhsa_private_segment_fixed_size 0
		.amdhsa_kernarg_size 104
		.amdhsa_user_sgpr_count 6
		.amdhsa_user_sgpr_private_segment_buffer 1
		.amdhsa_user_sgpr_dispatch_ptr 0
		.amdhsa_user_sgpr_queue_ptr 0
		.amdhsa_user_sgpr_kernarg_segment_ptr 1
		.amdhsa_user_sgpr_dispatch_id 0
		.amdhsa_user_sgpr_flat_scratch_init 0
		.amdhsa_user_sgpr_private_segment_size 0
		.amdhsa_wavefront_size32 1
		.amdhsa_uses_dynamic_stack 0
		.amdhsa_system_sgpr_private_segment_wavefront_offset 0
		.amdhsa_system_sgpr_workgroup_id_x 1
		.amdhsa_system_sgpr_workgroup_id_y 0
		.amdhsa_system_sgpr_workgroup_id_z 0
		.amdhsa_system_sgpr_workgroup_info 0
		.amdhsa_system_vgpr_workitem_id 0
		.amdhsa_next_free_vgpr 27
		.amdhsa_next_free_sgpr 32
		.amdhsa_reserve_vcc 1
		.amdhsa_reserve_flat_scratch 0
		.amdhsa_float_round_mode_32 0
		.amdhsa_float_round_mode_16_64 0
		.amdhsa_float_denorm_mode_32 3
		.amdhsa_float_denorm_mode_16_64 3
		.amdhsa_dx10_clamp 1
		.amdhsa_ieee_mode 1
		.amdhsa_fp16_overflow 0
		.amdhsa_workgroup_processor_mode 1
		.amdhsa_memory_ordered 1
		.amdhsa_forward_progress 1
		.amdhsa_shared_vgpr_count 0
		.amdhsa_exception_fp_ieee_invalid_op 0
		.amdhsa_exception_fp_denorm_src 0
		.amdhsa_exception_fp_ieee_div_zero 0
		.amdhsa_exception_fp_ieee_overflow 0
		.amdhsa_exception_fp_ieee_underflow 0
		.amdhsa_exception_fp_ieee_inexact 0
		.amdhsa_exception_int_div_zero 0
	.end_amdhsa_kernel
	.section	.text._ZN9rocsparseL22bsrxmvn_general_kernelILj256ELj16E21rocsparse_complex_numIfEliS2_S2_S2_EEv20rocsparse_direction_NS_24const_host_device_scalarIT1_EET3_PKS7_PKT2_SC_S9_PKT4_S7_PKT5_S6_PT6_21rocsparse_index_base_b,"axG",@progbits,_ZN9rocsparseL22bsrxmvn_general_kernelILj256ELj16E21rocsparse_complex_numIfEliS2_S2_S2_EEv20rocsparse_direction_NS_24const_host_device_scalarIT1_EET3_PKS7_PKT2_SC_S9_PKT4_S7_PKT5_S6_PT6_21rocsparse_index_base_b,comdat
.Lfunc_end19:
	.size	_ZN9rocsparseL22bsrxmvn_general_kernelILj256ELj16E21rocsparse_complex_numIfEliS2_S2_S2_EEv20rocsparse_direction_NS_24const_host_device_scalarIT1_EET3_PKS7_PKT2_SC_S9_PKT4_S7_PKT5_S6_PT6_21rocsparse_index_base_b, .Lfunc_end19-_ZN9rocsparseL22bsrxmvn_general_kernelILj256ELj16E21rocsparse_complex_numIfEliS2_S2_S2_EEv20rocsparse_direction_NS_24const_host_device_scalarIT1_EET3_PKS7_PKT2_SC_S9_PKT4_S7_PKT5_S6_PT6_21rocsparse_index_base_b
                                        ; -- End function
	.set _ZN9rocsparseL22bsrxmvn_general_kernelILj256ELj16E21rocsparse_complex_numIfEliS2_S2_S2_EEv20rocsparse_direction_NS_24const_host_device_scalarIT1_EET3_PKS7_PKT2_SC_S9_PKT4_S7_PKT5_S6_PT6_21rocsparse_index_base_b.num_vgpr, 27
	.set _ZN9rocsparseL22bsrxmvn_general_kernelILj256ELj16E21rocsparse_complex_numIfEliS2_S2_S2_EEv20rocsparse_direction_NS_24const_host_device_scalarIT1_EET3_PKS7_PKT2_SC_S9_PKT4_S7_PKT5_S6_PT6_21rocsparse_index_base_b.num_agpr, 0
	.set _ZN9rocsparseL22bsrxmvn_general_kernelILj256ELj16E21rocsparse_complex_numIfEliS2_S2_S2_EEv20rocsparse_direction_NS_24const_host_device_scalarIT1_EET3_PKS7_PKT2_SC_S9_PKT4_S7_PKT5_S6_PT6_21rocsparse_index_base_b.numbered_sgpr, 32
	.set _ZN9rocsparseL22bsrxmvn_general_kernelILj256ELj16E21rocsparse_complex_numIfEliS2_S2_S2_EEv20rocsparse_direction_NS_24const_host_device_scalarIT1_EET3_PKS7_PKT2_SC_S9_PKT4_S7_PKT5_S6_PT6_21rocsparse_index_base_b.num_named_barrier, 0
	.set _ZN9rocsparseL22bsrxmvn_general_kernelILj256ELj16E21rocsparse_complex_numIfEliS2_S2_S2_EEv20rocsparse_direction_NS_24const_host_device_scalarIT1_EET3_PKS7_PKT2_SC_S9_PKT4_S7_PKT5_S6_PT6_21rocsparse_index_base_b.private_seg_size, 0
	.set _ZN9rocsparseL22bsrxmvn_general_kernelILj256ELj16E21rocsparse_complex_numIfEliS2_S2_S2_EEv20rocsparse_direction_NS_24const_host_device_scalarIT1_EET3_PKS7_PKT2_SC_S9_PKT4_S7_PKT5_S6_PT6_21rocsparse_index_base_b.uses_vcc, 1
	.set _ZN9rocsparseL22bsrxmvn_general_kernelILj256ELj16E21rocsparse_complex_numIfEliS2_S2_S2_EEv20rocsparse_direction_NS_24const_host_device_scalarIT1_EET3_PKS7_PKT2_SC_S9_PKT4_S7_PKT5_S6_PT6_21rocsparse_index_base_b.uses_flat_scratch, 0
	.set _ZN9rocsparseL22bsrxmvn_general_kernelILj256ELj16E21rocsparse_complex_numIfEliS2_S2_S2_EEv20rocsparse_direction_NS_24const_host_device_scalarIT1_EET3_PKS7_PKT2_SC_S9_PKT4_S7_PKT5_S6_PT6_21rocsparse_index_base_b.has_dyn_sized_stack, 0
	.set _ZN9rocsparseL22bsrxmvn_general_kernelILj256ELj16E21rocsparse_complex_numIfEliS2_S2_S2_EEv20rocsparse_direction_NS_24const_host_device_scalarIT1_EET3_PKS7_PKT2_SC_S9_PKT4_S7_PKT5_S6_PT6_21rocsparse_index_base_b.has_recursion, 0
	.set _ZN9rocsparseL22bsrxmvn_general_kernelILj256ELj16E21rocsparse_complex_numIfEliS2_S2_S2_EEv20rocsparse_direction_NS_24const_host_device_scalarIT1_EET3_PKS7_PKT2_SC_S9_PKT4_S7_PKT5_S6_PT6_21rocsparse_index_base_b.has_indirect_call, 0
	.section	.AMDGPU.csdata,"",@progbits
; Kernel info:
; codeLenInByte = 1304
; TotalNumSgprs: 34
; NumVgprs: 27
; ScratchSize: 0
; MemoryBound: 0
; FloatMode: 240
; IeeeMode: 1
; LDSByteSize: 0 bytes/workgroup (compile time only)
; SGPRBlocks: 0
; VGPRBlocks: 3
; NumSGPRsForWavesPerEU: 34
; NumVGPRsForWavesPerEU: 27
; Occupancy: 16
; WaveLimiterHint : 1
; COMPUTE_PGM_RSRC2:SCRATCH_EN: 0
; COMPUTE_PGM_RSRC2:USER_SGPR: 6
; COMPUTE_PGM_RSRC2:TRAP_HANDLER: 0
; COMPUTE_PGM_RSRC2:TGID_X_EN: 1
; COMPUTE_PGM_RSRC2:TGID_Y_EN: 0
; COMPUTE_PGM_RSRC2:TGID_Z_EN: 0
; COMPUTE_PGM_RSRC2:TIDIG_COMP_CNT: 0
	.section	.text._ZN9rocsparseL22bsrxmvn_general_kernelILj1024ELj32E21rocsparse_complex_numIfEliS2_S2_S2_EEv20rocsparse_direction_NS_24const_host_device_scalarIT1_EET3_PKS7_PKT2_SC_S9_PKT4_S7_PKT5_S6_PT6_21rocsparse_index_base_b,"axG",@progbits,_ZN9rocsparseL22bsrxmvn_general_kernelILj1024ELj32E21rocsparse_complex_numIfEliS2_S2_S2_EEv20rocsparse_direction_NS_24const_host_device_scalarIT1_EET3_PKS7_PKT2_SC_S9_PKT4_S7_PKT5_S6_PT6_21rocsparse_index_base_b,comdat
	.globl	_ZN9rocsparseL22bsrxmvn_general_kernelILj1024ELj32E21rocsparse_complex_numIfEliS2_S2_S2_EEv20rocsparse_direction_NS_24const_host_device_scalarIT1_EET3_PKS7_PKT2_SC_S9_PKT4_S7_PKT5_S6_PT6_21rocsparse_index_base_b ; -- Begin function _ZN9rocsparseL22bsrxmvn_general_kernelILj1024ELj32E21rocsparse_complex_numIfEliS2_S2_S2_EEv20rocsparse_direction_NS_24const_host_device_scalarIT1_EET3_PKS7_PKT2_SC_S9_PKT4_S7_PKT5_S6_PT6_21rocsparse_index_base_b
	.p2align	8
	.type	_ZN9rocsparseL22bsrxmvn_general_kernelILj1024ELj32E21rocsparse_complex_numIfEliS2_S2_S2_EEv20rocsparse_direction_NS_24const_host_device_scalarIT1_EET3_PKS7_PKT2_SC_S9_PKT4_S7_PKT5_S6_PT6_21rocsparse_index_base_b,@function
_ZN9rocsparseL22bsrxmvn_general_kernelILj1024ELj32E21rocsparse_complex_numIfEliS2_S2_S2_EEv20rocsparse_direction_NS_24const_host_device_scalarIT1_EET3_PKS7_PKT2_SC_S9_PKT4_S7_PKT5_S6_PT6_21rocsparse_index_base_b: ; @_ZN9rocsparseL22bsrxmvn_general_kernelILj1024ELj32E21rocsparse_complex_numIfEliS2_S2_S2_EEv20rocsparse_direction_NS_24const_host_device_scalarIT1_EET3_PKS7_PKT2_SC_S9_PKT4_S7_PKT5_S6_PT6_21rocsparse_index_base_b
; %bb.0:
	s_clause 0x2
	s_load_dwordx2 s[16:17], s[4:5], 0x60
	s_load_dwordx2 s[0:1], s[4:5], 0x8
	;; [unrolled: 1-line block ×3, first 2 shown]
	s_add_u32 s7, s4, 8
	s_addc_u32 s8, s5, 0
	s_add_u32 s9, s4, 0x50
	s_addc_u32 s10, s5, 0
	s_waitcnt lgkmcnt(0)
	s_bitcmp1_b32 s17, 0
	s_cselect_b32 s0, s7, s0
	s_cselect_b32 s1, s8, s1
	v_mov_b32_e32 v1, s0
	v_mov_b32_e32 v2, s1
	s_cselect_b32 s0, s9, s2
	s_cselect_b32 s1, s10, s3
	v_mov_b32_e32 v3, s0
	v_mov_b32_e32 v4, s1
	flat_load_dwordx2 v[1:2], v[1:2]
	flat_load_dwordx2 v[3:4], v[3:4]
	s_waitcnt vmcnt(1) lgkmcnt(1)
	v_cmp_eq_f32_e32 vcc_lo, 0, v1
	v_cmp_eq_f32_e64 s0, 0, v2
	s_and_b32 s2, vcc_lo, s0
	s_mov_b32 s0, -1
	s_and_saveexec_b32 s1, s2
	s_cbranch_execz .LBB20_2
; %bb.1:
	s_waitcnt vmcnt(0) lgkmcnt(0)
	v_cmp_neq_f32_e32 vcc_lo, 1.0, v3
	v_cmp_neq_f32_e64 s0, 0, v4
	s_or_b32 s0, vcc_lo, s0
	s_orn2_b32 s0, s0, exec_lo
.LBB20_2:
	s_or_b32 exec_lo, exec_lo, s1
	s_and_saveexec_b32 s1, s0
	s_cbranch_execz .LBB20_24
; %bb.3:
	s_load_dwordx2 s[0:1], s[4:5], 0x18
	s_waitcnt lgkmcnt(0)
	s_cmp_eq_u64 s[0:1], 0
	s_cbranch_scc1 .LBB20_5
; %bb.4:
	s_ashr_i32 s7, s6, 31
	s_lshl_b64 s[2:3], s[6:7], 2
	s_add_u32 s0, s0, s2
	s_addc_u32 s1, s1, s3
	s_load_dword s0, s[0:1], 0x0
	s_waitcnt lgkmcnt(0)
	s_sub_i32 s6, s0, s16
.LBB20_5:
	s_load_dword s17, s[4:5], 0x40
	v_lshrrev_b32_e32 v5, 5, v0
	s_waitcnt lgkmcnt(0)
	v_cmp_gt_i32_e32 vcc_lo, s17, v5
	s_and_b32 exec_lo, exec_lo, vcc_lo
	s_cbranch_execz .LBB20_24
; %bb.6:
	s_load_dwordx8 s[8:15], s[4:5], 0x20
	s_ashr_i32 s7, s6, 31
	v_mbcnt_lo_u32_b32 v9, -1, 0
	s_lshl_b64 s[26:27], s[6:7], 3
	s_load_dword s30, s[4:5], 0x0
	s_mul_i32 s25, s6, s17
	v_and_b32_e32 v7, 31, v0
	v_xor_b32_e32 v10, 16, v9
	v_xor_b32_e32 v11, 8, v9
	;; [unrolled: 1-line block ×5, first 2 shown]
	v_mov_b32_e32 v6, 0
	s_mul_hi_u32 s23, s17, s17
	s_mul_i32 s24, s17, s17
	v_mul_lo_u32 v0, s17, v5
	v_mul_lo_u32 v15, s17, v7
	s_waitcnt vmcnt(0)
	v_cmp_eq_f32_e32 vcc_lo, 0, v3
	v_cmp_eq_f32_e64 s2, 0, v4
	v_cmp_gt_u32_e64 s0, s17, v7
	s_waitcnt lgkmcnt(0)
	s_add_u32 s28, s8, s26
	s_addc_u32 s29, s9, s27
	v_cmp_eq_u32_e64 s1, 31, v7
	s_load_dwordx2 s[20:21], s[28:29], 0x0
	s_clause 0x1
	s_load_dwordx2 s[8:9], s[4:5], 0x58
	s_load_dwordx2 s[18:19], s[4:5], 0x48
	v_mov_b32_e32 v8, v6
	s_mov_b32 s22, 0
	s_waitcnt lgkmcnt(0)
	s_sub_u32 s4, s20, s16
	s_subb_u32 s5, s21, 0
	s_add_u32 s3, s28, 8
	s_addc_u32 s6, s29, 0
	s_add_u32 s26, s10, s26
	s_addc_u32 s7, s11, s27
	s_cmp_eq_u64 s[10:11], 0
	s_mul_hi_u32 s28, s4, s24
	s_cselect_b32 s7, s6, s7
	s_cselect_b32 s6, s3, s26
	v_cmp_gt_i32_e64 s3, 32, v10
	s_load_dwordx2 s[26:27], s[6:7], 0x0
	s_mul_i32 s29, s5, s24
	s_mul_i32 s10, s4, s24
	v_cndmask_b32_e64 v10, v9, v10, s3
	v_cmp_gt_i32_e64 s3, 32, v11
	v_lshlrev_b32_e32 v16, 2, v10
	v_cndmask_b32_e64 v11, v9, v11, s3
	v_cmp_gt_i32_e64 s3, 32, v12
	v_lshlrev_b32_e32 v17, 2, v11
	v_cndmask_b32_e64 v12, v9, v12, s3
	v_cmp_gt_i32_e64 s3, 32, v13
	s_waitcnt lgkmcnt(0)
	s_sub_u32 s6, s26, s16
	s_subb_u32 s7, s27, 0
	v_cndmask_b32_e64 v13, v9, v13, s3
	v_cmp_gt_i32_e64 s3, 32, v14
	s_cmp_lg_u32 s30, 0
	v_cmp_lt_i64_e64 s11, s[20:21], s[26:27]
	v_lshlrev_b32_e32 v18, 2, v12
	v_lshlrev_b32_e32 v19, 2, v13
	v_cndmask_b32_e64 v9, v9, v14, s3
	s_mul_i32 s3, s4, s23
	s_cselect_b32 s20, -1, 0
	s_add_i32 s3, s28, s3
	s_and_b32 s21, vcc_lo, s2
	v_lshlrev_b32_e32 v20, 2, v9
	s_add_i32 s26, s3, s29
	s_lshl_b32 s27, s17, 5
	s_branch .LBB20_8
.LBB20_7:                               ;   in Loop: Header=BB20_8 Depth=1
	s_or_b32 exec_lo, exec_lo, s2
	v_add_nc_u32_e32 v5, 32, v5
	v_add_nc_u32_e32 v0, s27, v0
	v_cmp_le_i32_e32 vcc_lo, s17, v5
	s_or_b32 s22, vcc_lo, s22
	s_andn2_b32 exec_lo, exec_lo, s22
	s_cbranch_execz .LBB20_24
.LBB20_8:                               ; =>This Loop Header: Depth=1
                                        ;     Child Loop BB20_12 Depth 2
                                        ;       Child Loop BB20_15 Depth 3
	v_mov_b32_e32 v21, 0
	v_mov_b32_e32 v22, 0
	s_andn2_b32 vcc_lo, exec_lo, s11
	s_cbranch_vccnz .LBB20_19
; %bb.9:                                ;   in Loop: Header=BB20_8 Depth=1
	v_ashrrev_i32_e32 v9, 31, v0
	v_add_co_u32 v23, vcc_lo, s10, v0
	v_mov_b32_e32 v21, 0
	v_mov_b32_e32 v22, 0
	v_add_co_ci_u32_e64 v24, null, s26, v9, vcc_lo
	s_mov_b64 s[2:3], s[4:5]
	s_branch .LBB20_12
.LBB20_10:                              ;   in Loop: Header=BB20_12 Depth=2
	s_or_b32 exec_lo, exec_lo, s29
.LBB20_11:                              ;   in Loop: Header=BB20_12 Depth=2
	s_or_b32 exec_lo, exec_lo, s28
	s_add_u32 s2, s2, 1
	s_addc_u32 s3, s3, 0
	v_add_co_u32 v23, vcc_lo, v23, s24
	v_cmp_ge_i64_e64 s28, s[2:3], s[6:7]
	v_add_co_ci_u32_e64 v24, null, s23, v24, vcc_lo
	s_and_b32 vcc_lo, exec_lo, s28
	s_cbranch_vccnz .LBB20_19
.LBB20_12:                              ;   Parent Loop BB20_8 Depth=1
                                        ; =>  This Loop Header: Depth=2
                                        ;       Child Loop BB20_15 Depth 3
	s_and_saveexec_b32 s28, s0
	s_cbranch_execz .LBB20_11
; %bb.13:                               ;   in Loop: Header=BB20_12 Depth=2
	s_lshl_b64 s[30:31], s[2:3], 2
	s_waitcnt lgkmcnt(1)
	v_mad_u64_u32 v[9:10], null, s24, s2, v[5:6]
	s_add_u32 s30, s12, s30
	s_addc_u32 s31, s13, s31
	s_waitcnt lgkmcnt(0)
	v_mov_b32_e32 v12, v8
	s_load_dword s29, s[30:31], 0x0
	s_mul_i32 s30, s23, s2
	s_mul_i32 s31, s24, s3
	v_mov_b32_e32 v25, v15
	v_mov_b32_e32 v11, v7
	v_add3_u32 v10, s31, s30, v10
	s_waitcnt lgkmcnt(0)
	s_sub_i32 s29, s29, s16
	s_mul_i32 s30, s29, s17
	s_mov_b32 s29, 0
	s_branch .LBB20_15
.LBB20_14:                              ;   in Loop: Header=BB20_15 Depth=3
	v_add_nc_u32_e32 v26, s30, v11
	v_lshlrev_b64 v[13:14], 3, v[13:14]
	v_add_nc_u32_e32 v25, s27, v25
	v_ashrrev_i32_e32 v27, 31, v26
	v_add_co_u32 v13, vcc_lo, s14, v13
	v_add_co_ci_u32_e64 v14, null, s15, v14, vcc_lo
	v_lshlrev_b64 v[26:27], 3, v[26:27]
	v_add_co_u32 v26, vcc_lo, s18, v26
	v_add_co_ci_u32_e64 v27, null, s19, v27, vcc_lo
	v_add_co_u32 v11, vcc_lo, v11, 32
	global_load_dwordx2 v[13:14], v[13:14], off
	global_load_dwordx2 v[26:27], v[26:27], off
	v_add_co_ci_u32_e64 v12, null, 0, v12, vcc_lo
	v_cmp_le_i32_e32 vcc_lo, s17, v11
	s_or_b32 s29, vcc_lo, s29
	s_waitcnt vmcnt(0)
	v_fmac_f32_e32 v22, v13, v26
	v_fmac_f32_e32 v21, v14, v26
	v_fma_f32 v22, -v14, v27, v22
	v_fmac_f32_e32 v21, v13, v27
	s_andn2_b32 exec_lo, exec_lo, s29
	s_cbranch_execz .LBB20_10
.LBB20_15:                              ;   Parent Loop BB20_8 Depth=1
                                        ;     Parent Loop BB20_12 Depth=2
                                        ; =>    This Inner Loop Header: Depth=3
	s_and_b32 vcc_lo, exec_lo, s20
	s_cbranch_vccz .LBB20_17
; %bb.16:                               ;   in Loop: Header=BB20_15 Depth=3
	v_ashrrev_i32_e32 v14, 31, v25
	v_add_co_u32 v13, vcc_lo, v9, v25
	v_add_co_ci_u32_e64 v14, null, v10, v14, vcc_lo
	s_cbranch_execnz .LBB20_14
	s_branch .LBB20_18
.LBB20_17:                              ;   in Loop: Header=BB20_15 Depth=3
                                        ; implicit-def: $vgpr13_vgpr14
.LBB20_18:                              ;   in Loop: Header=BB20_15 Depth=3
	v_add_co_u32 v13, vcc_lo, v23, v11
	v_add_co_ci_u32_e64 v14, null, v24, v12, vcc_lo
	s_branch .LBB20_14
.LBB20_19:                              ;   in Loop: Header=BB20_8 Depth=1
	ds_bpermute_b32 v9, v16, v22
	s_waitcnt lgkmcnt(2)
	ds_bpermute_b32 v10, v16, v21
	s_waitcnt lgkmcnt(1)
	v_add_f32_e32 v9, v22, v9
	s_waitcnt lgkmcnt(0)
	v_add_f32_e32 v10, v21, v10
	ds_bpermute_b32 v11, v17, v9
	ds_bpermute_b32 v12, v17, v10
	s_waitcnt lgkmcnt(1)
	v_add_f32_e32 v9, v9, v11
	s_waitcnt lgkmcnt(0)
	v_add_f32_e32 v10, v10, v12
	ds_bpermute_b32 v11, v18, v9
	;; [unrolled: 6-line block ×4, first 2 shown]
	ds_bpermute_b32 v12, v20, v11
	s_and_saveexec_b32 s2, s1
	s_cbranch_execz .LBB20_7
; %bb.20:                               ;   in Loop: Header=BB20_8 Depth=1
	s_waitcnt lgkmcnt(0)
	v_add_f32_e32 v11, v11, v12
	v_add_f32_e32 v12, v9, v10
	v_mul_f32_e64 v9, v11, -v2
	v_mul_f32_e32 v10, v1, v11
	v_add_nc_u32_e32 v11, s25, v5
	v_fmac_f32_e32 v9, v1, v12
	v_fmac_f32_e32 v10, v2, v12
	v_ashrrev_i32_e32 v12, 31, v11
	s_and_saveexec_b32 s3, s21
	s_xor_b32 s3, exec_lo, s3
	s_cbranch_execz .LBB20_22
; %bb.21:                               ;   in Loop: Header=BB20_8 Depth=1
	v_lshlrev_b64 v[11:12], 3, v[11:12]
	v_add_co_u32 v11, vcc_lo, s8, v11
	v_add_co_ci_u32_e64 v12, null, s9, v12, vcc_lo
	global_store_dwordx2 v[11:12], v[9:10], off
                                        ; implicit-def: $vgpr11
                                        ; implicit-def: $vgpr9
.LBB20_22:                              ;   in Loop: Header=BB20_8 Depth=1
	s_andn2_saveexec_b32 s3, s3
	s_cbranch_execz .LBB20_7
; %bb.23:                               ;   in Loop: Header=BB20_8 Depth=1
	v_lshlrev_b64 v[11:12], 3, v[11:12]
	v_add_co_u32 v11, vcc_lo, s8, v11
	v_add_co_ci_u32_e64 v12, null, s9, v12, vcc_lo
	global_load_dwordx2 v[13:14], v[11:12], off
	s_waitcnt vmcnt(0)
	v_fmac_f32_e32 v9, v3, v13
	v_fmac_f32_e32 v10, v4, v13
	v_fma_f32 v9, -v4, v14, v9
	v_fmac_f32_e32 v10, v3, v14
	global_store_dwordx2 v[11:12], v[9:10], off
	s_branch .LBB20_7
.LBB20_24:
	s_endpgm
	.section	.rodata,"a",@progbits
	.p2align	6, 0x0
	.amdhsa_kernel _ZN9rocsparseL22bsrxmvn_general_kernelILj1024ELj32E21rocsparse_complex_numIfEliS2_S2_S2_EEv20rocsparse_direction_NS_24const_host_device_scalarIT1_EET3_PKS7_PKT2_SC_S9_PKT4_S7_PKT5_S6_PT6_21rocsparse_index_base_b
		.amdhsa_group_segment_fixed_size 0
		.amdhsa_private_segment_fixed_size 0
		.amdhsa_kernarg_size 104
		.amdhsa_user_sgpr_count 6
		.amdhsa_user_sgpr_private_segment_buffer 1
		.amdhsa_user_sgpr_dispatch_ptr 0
		.amdhsa_user_sgpr_queue_ptr 0
		.amdhsa_user_sgpr_kernarg_segment_ptr 1
		.amdhsa_user_sgpr_dispatch_id 0
		.amdhsa_user_sgpr_flat_scratch_init 0
		.amdhsa_user_sgpr_private_segment_size 0
		.amdhsa_wavefront_size32 1
		.amdhsa_uses_dynamic_stack 0
		.amdhsa_system_sgpr_private_segment_wavefront_offset 0
		.amdhsa_system_sgpr_workgroup_id_x 1
		.amdhsa_system_sgpr_workgroup_id_y 0
		.amdhsa_system_sgpr_workgroup_id_z 0
		.amdhsa_system_sgpr_workgroup_info 0
		.amdhsa_system_vgpr_workitem_id 0
		.amdhsa_next_free_vgpr 28
		.amdhsa_next_free_sgpr 32
		.amdhsa_reserve_vcc 1
		.amdhsa_reserve_flat_scratch 0
		.amdhsa_float_round_mode_32 0
		.amdhsa_float_round_mode_16_64 0
		.amdhsa_float_denorm_mode_32 3
		.amdhsa_float_denorm_mode_16_64 3
		.amdhsa_dx10_clamp 1
		.amdhsa_ieee_mode 1
		.amdhsa_fp16_overflow 0
		.amdhsa_workgroup_processor_mode 1
		.amdhsa_memory_ordered 1
		.amdhsa_forward_progress 1
		.amdhsa_shared_vgpr_count 0
		.amdhsa_exception_fp_ieee_invalid_op 0
		.amdhsa_exception_fp_denorm_src 0
		.amdhsa_exception_fp_ieee_div_zero 0
		.amdhsa_exception_fp_ieee_overflow 0
		.amdhsa_exception_fp_ieee_underflow 0
		.amdhsa_exception_fp_ieee_inexact 0
		.amdhsa_exception_int_div_zero 0
	.end_amdhsa_kernel
	.section	.text._ZN9rocsparseL22bsrxmvn_general_kernelILj1024ELj32E21rocsparse_complex_numIfEliS2_S2_S2_EEv20rocsparse_direction_NS_24const_host_device_scalarIT1_EET3_PKS7_PKT2_SC_S9_PKT4_S7_PKT5_S6_PT6_21rocsparse_index_base_b,"axG",@progbits,_ZN9rocsparseL22bsrxmvn_general_kernelILj1024ELj32E21rocsparse_complex_numIfEliS2_S2_S2_EEv20rocsparse_direction_NS_24const_host_device_scalarIT1_EET3_PKS7_PKT2_SC_S9_PKT4_S7_PKT5_S6_PT6_21rocsparse_index_base_b,comdat
.Lfunc_end20:
	.size	_ZN9rocsparseL22bsrxmvn_general_kernelILj1024ELj32E21rocsparse_complex_numIfEliS2_S2_S2_EEv20rocsparse_direction_NS_24const_host_device_scalarIT1_EET3_PKS7_PKT2_SC_S9_PKT4_S7_PKT5_S6_PT6_21rocsparse_index_base_b, .Lfunc_end20-_ZN9rocsparseL22bsrxmvn_general_kernelILj1024ELj32E21rocsparse_complex_numIfEliS2_S2_S2_EEv20rocsparse_direction_NS_24const_host_device_scalarIT1_EET3_PKS7_PKT2_SC_S9_PKT4_S7_PKT5_S6_PT6_21rocsparse_index_base_b
                                        ; -- End function
	.set _ZN9rocsparseL22bsrxmvn_general_kernelILj1024ELj32E21rocsparse_complex_numIfEliS2_S2_S2_EEv20rocsparse_direction_NS_24const_host_device_scalarIT1_EET3_PKS7_PKT2_SC_S9_PKT4_S7_PKT5_S6_PT6_21rocsparse_index_base_b.num_vgpr, 28
	.set _ZN9rocsparseL22bsrxmvn_general_kernelILj1024ELj32E21rocsparse_complex_numIfEliS2_S2_S2_EEv20rocsparse_direction_NS_24const_host_device_scalarIT1_EET3_PKS7_PKT2_SC_S9_PKT4_S7_PKT5_S6_PT6_21rocsparse_index_base_b.num_agpr, 0
	.set _ZN9rocsparseL22bsrxmvn_general_kernelILj1024ELj32E21rocsparse_complex_numIfEliS2_S2_S2_EEv20rocsparse_direction_NS_24const_host_device_scalarIT1_EET3_PKS7_PKT2_SC_S9_PKT4_S7_PKT5_S6_PT6_21rocsparse_index_base_b.numbered_sgpr, 32
	.set _ZN9rocsparseL22bsrxmvn_general_kernelILj1024ELj32E21rocsparse_complex_numIfEliS2_S2_S2_EEv20rocsparse_direction_NS_24const_host_device_scalarIT1_EET3_PKS7_PKT2_SC_S9_PKT4_S7_PKT5_S6_PT6_21rocsparse_index_base_b.num_named_barrier, 0
	.set _ZN9rocsparseL22bsrxmvn_general_kernelILj1024ELj32E21rocsparse_complex_numIfEliS2_S2_S2_EEv20rocsparse_direction_NS_24const_host_device_scalarIT1_EET3_PKS7_PKT2_SC_S9_PKT4_S7_PKT5_S6_PT6_21rocsparse_index_base_b.private_seg_size, 0
	.set _ZN9rocsparseL22bsrxmvn_general_kernelILj1024ELj32E21rocsparse_complex_numIfEliS2_S2_S2_EEv20rocsparse_direction_NS_24const_host_device_scalarIT1_EET3_PKS7_PKT2_SC_S9_PKT4_S7_PKT5_S6_PT6_21rocsparse_index_base_b.uses_vcc, 1
	.set _ZN9rocsparseL22bsrxmvn_general_kernelILj1024ELj32E21rocsparse_complex_numIfEliS2_S2_S2_EEv20rocsparse_direction_NS_24const_host_device_scalarIT1_EET3_PKS7_PKT2_SC_S9_PKT4_S7_PKT5_S6_PT6_21rocsparse_index_base_b.uses_flat_scratch, 0
	.set _ZN9rocsparseL22bsrxmvn_general_kernelILj1024ELj32E21rocsparse_complex_numIfEliS2_S2_S2_EEv20rocsparse_direction_NS_24const_host_device_scalarIT1_EET3_PKS7_PKT2_SC_S9_PKT4_S7_PKT5_S6_PT6_21rocsparse_index_base_b.has_dyn_sized_stack, 0
	.set _ZN9rocsparseL22bsrxmvn_general_kernelILj1024ELj32E21rocsparse_complex_numIfEliS2_S2_S2_EEv20rocsparse_direction_NS_24const_host_device_scalarIT1_EET3_PKS7_PKT2_SC_S9_PKT4_S7_PKT5_S6_PT6_21rocsparse_index_base_b.has_recursion, 0
	.set _ZN9rocsparseL22bsrxmvn_general_kernelILj1024ELj32E21rocsparse_complex_numIfEliS2_S2_S2_EEv20rocsparse_direction_NS_24const_host_device_scalarIT1_EET3_PKS7_PKT2_SC_S9_PKT4_S7_PKT5_S6_PT6_21rocsparse_index_base_b.has_indirect_call, 0
	.section	.AMDGPU.csdata,"",@progbits
; Kernel info:
; codeLenInByte = 1360
; TotalNumSgprs: 34
; NumVgprs: 28
; ScratchSize: 0
; MemoryBound: 0
; FloatMode: 240
; IeeeMode: 1
; LDSByteSize: 0 bytes/workgroup (compile time only)
; SGPRBlocks: 0
; VGPRBlocks: 3
; NumSGPRsForWavesPerEU: 34
; NumVGPRsForWavesPerEU: 28
; Occupancy: 16
; WaveLimiterHint : 1
; COMPUTE_PGM_RSRC2:SCRATCH_EN: 0
; COMPUTE_PGM_RSRC2:USER_SGPR: 6
; COMPUTE_PGM_RSRC2:TRAP_HANDLER: 0
; COMPUTE_PGM_RSRC2:TGID_X_EN: 1
; COMPUTE_PGM_RSRC2:TGID_Y_EN: 0
; COMPUTE_PGM_RSRC2:TGID_Z_EN: 0
; COMPUTE_PGM_RSRC2:TIDIG_COMP_CNT: 0
	.section	.text._ZN9rocsparseL22bsrxmvn_general_kernelILj64ELj8E21rocsparse_complex_numIdEliS2_S2_S2_EEv20rocsparse_direction_NS_24const_host_device_scalarIT1_EET3_PKS7_PKT2_SC_S9_PKT4_S7_PKT5_S6_PT6_21rocsparse_index_base_b,"axG",@progbits,_ZN9rocsparseL22bsrxmvn_general_kernelILj64ELj8E21rocsparse_complex_numIdEliS2_S2_S2_EEv20rocsparse_direction_NS_24const_host_device_scalarIT1_EET3_PKS7_PKT2_SC_S9_PKT4_S7_PKT5_S6_PT6_21rocsparse_index_base_b,comdat
	.globl	_ZN9rocsparseL22bsrxmvn_general_kernelILj64ELj8E21rocsparse_complex_numIdEliS2_S2_S2_EEv20rocsparse_direction_NS_24const_host_device_scalarIT1_EET3_PKS7_PKT2_SC_S9_PKT4_S7_PKT5_S6_PT6_21rocsparse_index_base_b ; -- Begin function _ZN9rocsparseL22bsrxmvn_general_kernelILj64ELj8E21rocsparse_complex_numIdEliS2_S2_S2_EEv20rocsparse_direction_NS_24const_host_device_scalarIT1_EET3_PKS7_PKT2_SC_S9_PKT4_S7_PKT5_S6_PT6_21rocsparse_index_base_b
	.p2align	8
	.type	_ZN9rocsparseL22bsrxmvn_general_kernelILj64ELj8E21rocsparse_complex_numIdEliS2_S2_S2_EEv20rocsparse_direction_NS_24const_host_device_scalarIT1_EET3_PKS7_PKT2_SC_S9_PKT4_S7_PKT5_S6_PT6_21rocsparse_index_base_b,@function
_ZN9rocsparseL22bsrxmvn_general_kernelILj64ELj8E21rocsparse_complex_numIdEliS2_S2_S2_EEv20rocsparse_direction_NS_24const_host_device_scalarIT1_EET3_PKS7_PKT2_SC_S9_PKT4_S7_PKT5_S6_PT6_21rocsparse_index_base_b: ; @_ZN9rocsparseL22bsrxmvn_general_kernelILj64ELj8E21rocsparse_complex_numIdEliS2_S2_S2_EEv20rocsparse_direction_NS_24const_host_device_scalarIT1_EET3_PKS7_PKT2_SC_S9_PKT4_S7_PKT5_S6_PT6_21rocsparse_index_base_b
; %bb.0:
	s_clause 0x1
	s_load_dwordx2 s[16:17], s[4:5], 0x70
	s_load_dwordx2 s[0:1], s[4:5], 0x8
	s_add_u32 s7, s4, 8
	s_addc_u32 s8, s5, 0
	s_add_u32 s9, s4, 0x58
	s_addc_u32 s10, s5, 0
	s_load_dwordx2 s[2:3], s[4:5], 0x58
	s_waitcnt lgkmcnt(0)
	s_bitcmp1_b32 s17, 0
	s_cselect_b32 s0, s7, s0
	s_cselect_b32 s1, s8, s1
	v_mov_b32_e32 v1, s0
	v_mov_b32_e32 v2, s1
	s_cselect_b32 s0, s9, s2
	s_cselect_b32 s1, s10, s3
	v_mov_b32_e32 v5, s0
	v_mov_b32_e32 v6, s1
	flat_load_dwordx4 v[1:4], v[1:2]
	flat_load_dwordx4 v[5:8], v[5:6]
	s_waitcnt vmcnt(1) lgkmcnt(1)
	v_cmp_eq_f64_e32 vcc_lo, 0, v[1:2]
	v_cmp_eq_f64_e64 s0, 0, v[3:4]
	s_and_b32 s2, vcc_lo, s0
	s_mov_b32 s0, -1
	s_and_saveexec_b32 s1, s2
	s_cbranch_execz .LBB21_2
; %bb.1:
	s_waitcnt vmcnt(0) lgkmcnt(0)
	v_cmp_neq_f64_e32 vcc_lo, 1.0, v[5:6]
	v_cmp_neq_f64_e64 s0, 0, v[7:8]
	s_or_b32 s0, vcc_lo, s0
	s_orn2_b32 s0, s0, exec_lo
.LBB21_2:
	s_or_b32 exec_lo, exec_lo, s1
	s_and_saveexec_b32 s1, s0
	s_cbranch_execz .LBB21_24
; %bb.3:
	s_load_dwordx2 s[0:1], s[4:5], 0x20
	s_waitcnt lgkmcnt(0)
	s_cmp_eq_u64 s[0:1], 0
	s_cbranch_scc1 .LBB21_5
; %bb.4:
	s_ashr_i32 s7, s6, 31
	s_lshl_b64 s[2:3], s[6:7], 2
	s_add_u32 s0, s0, s2
	s_addc_u32 s1, s1, s3
	s_load_dword s0, s[0:1], 0x0
	s_waitcnt lgkmcnt(0)
	s_sub_i32 s6, s0, s16
.LBB21_5:
	s_load_dword s17, s[4:5], 0x48
	v_lshrrev_b32_e32 v13, 3, v0
	s_waitcnt lgkmcnt(0)
	v_cmp_gt_i32_e32 vcc_lo, s17, v13
	s_and_b32 exec_lo, exec_lo, vcc_lo
	s_cbranch_execz .LBB21_24
; %bb.6:
	s_load_dwordx8 s[8:15], s[4:5], 0x28
	s_ashr_i32 s7, s6, 31
	s_load_dword s3, s[4:5], 0x0
	s_lshl_b64 s[0:1], s[6:7], 3
	s_mul_i32 s23, s6, s17
	v_mbcnt_lo_u32_b32 v9, -1, 0
	s_waitcnt vmcnt(0)
	v_cmp_eq_f64_e32 vcc_lo, 0, v[5:6]
	v_cmp_eq_f64_e64 s2, 0, v[7:8]
	v_and_b32_e32 v15, 7, v0
	s_mul_hi_u32 s21, s17, s17
	v_xor_b32_e32 v10, 4, v9
	v_xor_b32_e32 v11, 2, v9
	;; [unrolled: 1-line block ×3, first 2 shown]
	s_mul_i32 s22, s17, s17
	v_mul_lo_u32 v0, s17, v13
	v_mul_lo_u32 v23, s17, v15
	v_mov_b32_e32 v16, 0
	s_mov_b32 s20, 0
	s_waitcnt lgkmcnt(0)
	s_add_u32 s24, s8, s0
	s_addc_u32 s25, s9, s1
	s_load_dwordx2 s[26:27], s[24:25], 0x0
	s_clause 0x1
	s_load_dwordx2 s[8:9], s[4:5], 0x68
	s_load_dwordx2 s[18:19], s[4:5], 0x50
	s_waitcnt lgkmcnt(0)
	s_sub_u32 s4, s26, s16
	s_subb_u32 s5, s27, 0
	s_add_u32 s6, s24, 8
	s_addc_u32 s7, s25, 0
	s_add_u32 s0, s10, s0
	s_addc_u32 s1, s11, s1
	s_cmp_eq_u64 s[10:11], 0
	s_mul_i32 s28, s4, s21
	s_cselect_b32 s1, s7, s1
	s_cselect_b32 s0, s6, s0
	s_mul_hi_u32 s29, s4, s22
	s_load_dwordx2 s[24:25], s[0:1], 0x0
	v_cmp_gt_i32_e64 s1, 32, v10
	v_cmp_gt_u32_e64 s0, s17, v15
	s_mul_i32 s30, s5, s22
	s_mul_i32 s10, s4, s22
	v_cndmask_b32_e64 v10, v9, v10, s1
	v_cmp_gt_i32_e64 s1, 32, v11
	v_lshlrev_b32_e32 v24, 2, v10
	v_cndmask_b32_e64 v11, v9, v11, s1
	v_cmp_gt_i32_e64 s1, 32, v12
	v_lshlrev_b32_e32 v25, 2, v11
	v_cndmask_b32_e64 v9, v9, v12, s1
	v_cmp_eq_u32_e64 s1, 7, v15
	s_waitcnt lgkmcnt(0)
	s_sub_u32 s6, s24, s16
	s_subb_u32 s7, s25, 0
	s_cmp_lg_u32 s3, 0
	v_cmp_lt_i64_e64 s11, s[26:27], s[24:25]
	v_lshlrev_b32_e32 v26, 2, v9
	s_cselect_b32 s24, -1, 0
	s_add_i32 s3, s29, s28
	s_and_b32 s25, vcc_lo, s2
	s_add_i32 s26, s3, s30
	s_lshl_b32 s27, s17, 3
	s_branch .LBB21_8
.LBB21_7:                               ;   in Loop: Header=BB21_8 Depth=1
	s_or_b32 exec_lo, exec_lo, s2
	v_add_nc_u32_e32 v13, 8, v13
	v_add_nc_u32_e32 v0, s27, v0
	v_cmp_le_i32_e32 vcc_lo, s17, v13
	s_or_b32 s20, vcc_lo, s20
	s_andn2_b32 exec_lo, exec_lo, s20
	s_cbranch_execz .LBB21_24
.LBB21_8:                               ; =>This Loop Header: Depth=1
                                        ;     Child Loop BB21_12 Depth 2
                                        ;       Child Loop BB21_15 Depth 3
	v_mov_b32_e32 v9, 0
	v_mov_b32_e32 v11, 0
	;; [unrolled: 1-line block ×4, first 2 shown]
	s_andn2_b32 vcc_lo, exec_lo, s11
	s_cbranch_vccnz .LBB21_19
; %bb.9:                                ;   in Loop: Header=BB21_8 Depth=1
	v_ashrrev_i32_e32 v11, 31, v0
	v_add_co_u32 v27, vcc_lo, s10, v0
	v_mov_b32_e32 v9, 0
	v_mov_b32_e32 v10, 0
	v_add_co_ci_u32_e64 v28, null, s26, v11, vcc_lo
	v_mov_b32_e32 v11, 0
	v_mov_b32_e32 v12, 0
	v_ashrrev_i32_e32 v14, 31, v13
	s_mov_b64 s[2:3], s[4:5]
	s_branch .LBB21_12
.LBB21_10:                              ;   in Loop: Header=BB21_12 Depth=2
	s_or_b32 exec_lo, exec_lo, s29
.LBB21_11:                              ;   in Loop: Header=BB21_12 Depth=2
	s_or_b32 exec_lo, exec_lo, s28
	s_add_u32 s2, s2, 1
	s_addc_u32 s3, s3, 0
	v_add_co_u32 v27, vcc_lo, v27, s22
	v_cmp_ge_i64_e64 s28, s[2:3], s[6:7]
	v_add_co_ci_u32_e64 v28, null, s21, v28, vcc_lo
	s_and_b32 vcc_lo, exec_lo, s28
	s_cbranch_vccnz .LBB21_19
.LBB21_12:                              ;   Parent Loop BB21_8 Depth=1
                                        ; =>  This Loop Header: Depth=2
                                        ;       Child Loop BB21_15 Depth 3
	s_and_saveexec_b32 s28, s0
	s_cbranch_execz .LBB21_11
; %bb.13:                               ;   in Loop: Header=BB21_12 Depth=2
	s_lshl_b64 s[30:31], s[2:3], 2
	s_waitcnt lgkmcnt(2)
	v_mad_u64_u32 v[17:18], null, s22, s2, v[13:14]
	s_add_u32 s30, s12, s30
	s_addc_u32 s31, s13, s31
	s_waitcnt lgkmcnt(0)
	v_mov_b32_e32 v20, v16
	s_load_dword s29, s[30:31], 0x0
	s_mul_i32 s30, s21, s2
	s_mul_i32 s31, s22, s3
	v_mov_b32_e32 v29, v23
	v_mov_b32_e32 v19, v15
	v_add3_u32 v18, s31, s30, v18
	s_waitcnt lgkmcnt(0)
	s_sub_i32 s29, s29, s16
	s_mul_i32 s30, s29, s17
	s_mov_b32 s29, 0
	s_branch .LBB21_15
.LBB21_14:                              ;   in Loop: Header=BB21_15 Depth=3
	v_add_nc_u32_e32 v30, s30, v19
	v_lshlrev_b64 v[21:22], 4, v[21:22]
	v_add_nc_u32_e32 v29, s27, v29
	v_ashrrev_i32_e32 v31, 31, v30
	v_add_co_u32 v21, vcc_lo, s14, v21
	v_add_co_ci_u32_e64 v22, null, s15, v22, vcc_lo
	v_lshlrev_b64 v[30:31], 4, v[30:31]
	v_add_co_u32 v34, vcc_lo, s18, v30
	v_add_co_ci_u32_e64 v35, null, s19, v31, vcc_lo
	v_add_co_u32 v19, vcc_lo, v19, 8
	global_load_dwordx4 v[30:33], v[21:22], off
	global_load_dwordx4 v[34:37], v[34:35], off
	v_add_co_ci_u32_e64 v20, null, 0, v20, vcc_lo
	v_cmp_le_i32_e32 vcc_lo, s17, v19
	s_or_b32 s29, vcc_lo, s29
	s_waitcnt vmcnt(0)
	v_fma_f64 v[11:12], v[30:31], v[34:35], v[11:12]
	v_fma_f64 v[9:10], v[32:33], v[34:35], v[9:10]
	v_fma_f64 v[11:12], -v[32:33], v[36:37], v[11:12]
	v_fma_f64 v[9:10], v[30:31], v[36:37], v[9:10]
	s_andn2_b32 exec_lo, exec_lo, s29
	s_cbranch_execz .LBB21_10
.LBB21_15:                              ;   Parent Loop BB21_8 Depth=1
                                        ;     Parent Loop BB21_12 Depth=2
                                        ; =>    This Inner Loop Header: Depth=3
	s_and_b32 vcc_lo, exec_lo, s24
	s_cbranch_vccz .LBB21_17
; %bb.16:                               ;   in Loop: Header=BB21_15 Depth=3
	v_ashrrev_i32_e32 v22, 31, v29
	v_add_co_u32 v21, vcc_lo, v17, v29
	v_add_co_ci_u32_e64 v22, null, v18, v22, vcc_lo
	s_cbranch_execnz .LBB21_14
	s_branch .LBB21_18
.LBB21_17:                              ;   in Loop: Header=BB21_15 Depth=3
                                        ; implicit-def: $vgpr21_vgpr22
.LBB21_18:                              ;   in Loop: Header=BB21_15 Depth=3
	v_add_co_u32 v21, vcc_lo, v27, v19
	v_add_co_ci_u32_e64 v22, null, v28, v20, vcc_lo
	s_branch .LBB21_14
.LBB21_19:                              ;   in Loop: Header=BB21_8 Depth=1
	s_waitcnt lgkmcnt(3)
	ds_bpermute_b32 v17, v24, v11
	s_waitcnt lgkmcnt(3)
	ds_bpermute_b32 v18, v24, v12
	;; [unrolled: 2-line block ×4, first 2 shown]
	s_waitcnt lgkmcnt(2)
	v_add_f64 v[11:12], v[11:12], v[17:18]
	s_waitcnt lgkmcnt(0)
	v_add_f64 v[17:18], v[9:10], v[19:20]
	ds_bpermute_b32 v9, v25, v11
	ds_bpermute_b32 v10, v25, v12
	;; [unrolled: 1-line block ×4, first 2 shown]
	s_waitcnt lgkmcnt(2)
	v_add_f64 v[9:10], v[11:12], v[9:10]
	s_waitcnt lgkmcnt(0)
	v_add_f64 v[11:12], v[17:18], v[19:20]
	ds_bpermute_b32 v17, v26, v9
	ds_bpermute_b32 v18, v26, v10
	;; [unrolled: 1-line block ×4, first 2 shown]
	s_and_saveexec_b32 s2, s1
	s_cbranch_execz .LBB21_7
; %bb.20:                               ;   in Loop: Header=BB21_8 Depth=1
	s_waitcnt lgkmcnt(0)
	v_add_f64 v[11:12], v[11:12], v[19:20]
	v_add_f64 v[17:18], v[9:10], v[17:18]
	v_mul_f64 v[9:10], v[11:12], -v[3:4]
	v_mul_f64 v[11:12], v[1:2], v[11:12]
	v_fma_f64 v[9:10], v[1:2], v[17:18], v[9:10]
	v_fma_f64 v[11:12], v[3:4], v[17:18], v[11:12]
	v_add_nc_u32_e32 v17, s23, v13
	v_ashrrev_i32_e32 v18, 31, v17
	s_and_saveexec_b32 s3, s25
	s_xor_b32 s3, exec_lo, s3
	s_cbranch_execz .LBB21_22
; %bb.21:                               ;   in Loop: Header=BB21_8 Depth=1
	v_lshlrev_b64 v[17:18], 4, v[17:18]
	v_add_co_u32 v17, vcc_lo, s8, v17
	v_add_co_ci_u32_e64 v18, null, s9, v18, vcc_lo
	global_store_dwordx4 v[17:18], v[9:12], off
                                        ; implicit-def: $vgpr17
                                        ; implicit-def: $vgpr9_vgpr10
.LBB21_22:                              ;   in Loop: Header=BB21_8 Depth=1
	s_andn2_saveexec_b32 s3, s3
	s_cbranch_execz .LBB21_7
; %bb.23:                               ;   in Loop: Header=BB21_8 Depth=1
	v_lshlrev_b64 v[17:18], 4, v[17:18]
	v_add_co_u32 v21, vcc_lo, s8, v17
	v_add_co_ci_u32_e64 v22, null, s9, v18, vcc_lo
	global_load_dwordx4 v[17:20], v[21:22], off
	s_waitcnt vmcnt(0)
	v_fma_f64 v[9:10], v[5:6], v[17:18], v[9:10]
	v_fma_f64 v[11:12], v[7:8], v[17:18], v[11:12]
	v_fma_f64 v[9:10], -v[7:8], v[19:20], v[9:10]
	v_fma_f64 v[11:12], v[5:6], v[19:20], v[11:12]
	global_store_dwordx4 v[21:22], v[9:12], off
	s_branch .LBB21_7
.LBB21_24:
	s_endpgm
	.section	.rodata,"a",@progbits
	.p2align	6, 0x0
	.amdhsa_kernel _ZN9rocsparseL22bsrxmvn_general_kernelILj64ELj8E21rocsparse_complex_numIdEliS2_S2_S2_EEv20rocsparse_direction_NS_24const_host_device_scalarIT1_EET3_PKS7_PKT2_SC_S9_PKT4_S7_PKT5_S6_PT6_21rocsparse_index_base_b
		.amdhsa_group_segment_fixed_size 0
		.amdhsa_private_segment_fixed_size 0
		.amdhsa_kernarg_size 120
		.amdhsa_user_sgpr_count 6
		.amdhsa_user_sgpr_private_segment_buffer 1
		.amdhsa_user_sgpr_dispatch_ptr 0
		.amdhsa_user_sgpr_queue_ptr 0
		.amdhsa_user_sgpr_kernarg_segment_ptr 1
		.amdhsa_user_sgpr_dispatch_id 0
		.amdhsa_user_sgpr_flat_scratch_init 0
		.amdhsa_user_sgpr_private_segment_size 0
		.amdhsa_wavefront_size32 1
		.amdhsa_uses_dynamic_stack 0
		.amdhsa_system_sgpr_private_segment_wavefront_offset 0
		.amdhsa_system_sgpr_workgroup_id_x 1
		.amdhsa_system_sgpr_workgroup_id_y 0
		.amdhsa_system_sgpr_workgroup_id_z 0
		.amdhsa_system_sgpr_workgroup_info 0
		.amdhsa_system_vgpr_workitem_id 0
		.amdhsa_next_free_vgpr 38
		.amdhsa_next_free_sgpr 32
		.amdhsa_reserve_vcc 1
		.amdhsa_reserve_flat_scratch 0
		.amdhsa_float_round_mode_32 0
		.amdhsa_float_round_mode_16_64 0
		.amdhsa_float_denorm_mode_32 3
		.amdhsa_float_denorm_mode_16_64 3
		.amdhsa_dx10_clamp 1
		.amdhsa_ieee_mode 1
		.amdhsa_fp16_overflow 0
		.amdhsa_workgroup_processor_mode 1
		.amdhsa_memory_ordered 1
		.amdhsa_forward_progress 1
		.amdhsa_shared_vgpr_count 0
		.amdhsa_exception_fp_ieee_invalid_op 0
		.amdhsa_exception_fp_denorm_src 0
		.amdhsa_exception_fp_ieee_div_zero 0
		.amdhsa_exception_fp_ieee_overflow 0
		.amdhsa_exception_fp_ieee_underflow 0
		.amdhsa_exception_fp_ieee_inexact 0
		.amdhsa_exception_int_div_zero 0
	.end_amdhsa_kernel
	.section	.text._ZN9rocsparseL22bsrxmvn_general_kernelILj64ELj8E21rocsparse_complex_numIdEliS2_S2_S2_EEv20rocsparse_direction_NS_24const_host_device_scalarIT1_EET3_PKS7_PKT2_SC_S9_PKT4_S7_PKT5_S6_PT6_21rocsparse_index_base_b,"axG",@progbits,_ZN9rocsparseL22bsrxmvn_general_kernelILj64ELj8E21rocsparse_complex_numIdEliS2_S2_S2_EEv20rocsparse_direction_NS_24const_host_device_scalarIT1_EET3_PKS7_PKT2_SC_S9_PKT4_S7_PKT5_S6_PT6_21rocsparse_index_base_b,comdat
.Lfunc_end21:
	.size	_ZN9rocsparseL22bsrxmvn_general_kernelILj64ELj8E21rocsparse_complex_numIdEliS2_S2_S2_EEv20rocsparse_direction_NS_24const_host_device_scalarIT1_EET3_PKS7_PKT2_SC_S9_PKT4_S7_PKT5_S6_PT6_21rocsparse_index_base_b, .Lfunc_end21-_ZN9rocsparseL22bsrxmvn_general_kernelILj64ELj8E21rocsparse_complex_numIdEliS2_S2_S2_EEv20rocsparse_direction_NS_24const_host_device_scalarIT1_EET3_PKS7_PKT2_SC_S9_PKT4_S7_PKT5_S6_PT6_21rocsparse_index_base_b
                                        ; -- End function
	.set _ZN9rocsparseL22bsrxmvn_general_kernelILj64ELj8E21rocsparse_complex_numIdEliS2_S2_S2_EEv20rocsparse_direction_NS_24const_host_device_scalarIT1_EET3_PKS7_PKT2_SC_S9_PKT4_S7_PKT5_S6_PT6_21rocsparse_index_base_b.num_vgpr, 38
	.set _ZN9rocsparseL22bsrxmvn_general_kernelILj64ELj8E21rocsparse_complex_numIdEliS2_S2_S2_EEv20rocsparse_direction_NS_24const_host_device_scalarIT1_EET3_PKS7_PKT2_SC_S9_PKT4_S7_PKT5_S6_PT6_21rocsparse_index_base_b.num_agpr, 0
	.set _ZN9rocsparseL22bsrxmvn_general_kernelILj64ELj8E21rocsparse_complex_numIdEliS2_S2_S2_EEv20rocsparse_direction_NS_24const_host_device_scalarIT1_EET3_PKS7_PKT2_SC_S9_PKT4_S7_PKT5_S6_PT6_21rocsparse_index_base_b.numbered_sgpr, 32
	.set _ZN9rocsparseL22bsrxmvn_general_kernelILj64ELj8E21rocsparse_complex_numIdEliS2_S2_S2_EEv20rocsparse_direction_NS_24const_host_device_scalarIT1_EET3_PKS7_PKT2_SC_S9_PKT4_S7_PKT5_S6_PT6_21rocsparse_index_base_b.num_named_barrier, 0
	.set _ZN9rocsparseL22bsrxmvn_general_kernelILj64ELj8E21rocsparse_complex_numIdEliS2_S2_S2_EEv20rocsparse_direction_NS_24const_host_device_scalarIT1_EET3_PKS7_PKT2_SC_S9_PKT4_S7_PKT5_S6_PT6_21rocsparse_index_base_b.private_seg_size, 0
	.set _ZN9rocsparseL22bsrxmvn_general_kernelILj64ELj8E21rocsparse_complex_numIdEliS2_S2_S2_EEv20rocsparse_direction_NS_24const_host_device_scalarIT1_EET3_PKS7_PKT2_SC_S9_PKT4_S7_PKT5_S6_PT6_21rocsparse_index_base_b.uses_vcc, 1
	.set _ZN9rocsparseL22bsrxmvn_general_kernelILj64ELj8E21rocsparse_complex_numIdEliS2_S2_S2_EEv20rocsparse_direction_NS_24const_host_device_scalarIT1_EET3_PKS7_PKT2_SC_S9_PKT4_S7_PKT5_S6_PT6_21rocsparse_index_base_b.uses_flat_scratch, 0
	.set _ZN9rocsparseL22bsrxmvn_general_kernelILj64ELj8E21rocsparse_complex_numIdEliS2_S2_S2_EEv20rocsparse_direction_NS_24const_host_device_scalarIT1_EET3_PKS7_PKT2_SC_S9_PKT4_S7_PKT5_S6_PT6_21rocsparse_index_base_b.has_dyn_sized_stack, 0
	.set _ZN9rocsparseL22bsrxmvn_general_kernelILj64ELj8E21rocsparse_complex_numIdEliS2_S2_S2_EEv20rocsparse_direction_NS_24const_host_device_scalarIT1_EET3_PKS7_PKT2_SC_S9_PKT4_S7_PKT5_S6_PT6_21rocsparse_index_base_b.has_recursion, 0
	.set _ZN9rocsparseL22bsrxmvn_general_kernelILj64ELj8E21rocsparse_complex_numIdEliS2_S2_S2_EEv20rocsparse_direction_NS_24const_host_device_scalarIT1_EET3_PKS7_PKT2_SC_S9_PKT4_S7_PKT5_S6_PT6_21rocsparse_index_base_b.has_indirect_call, 0
	.section	.AMDGPU.csdata,"",@progbits
; Kernel info:
; codeLenInByte = 1384
; TotalNumSgprs: 34
; NumVgprs: 38
; ScratchSize: 0
; MemoryBound: 0
; FloatMode: 240
; IeeeMode: 1
; LDSByteSize: 0 bytes/workgroup (compile time only)
; SGPRBlocks: 0
; VGPRBlocks: 4
; NumSGPRsForWavesPerEU: 34
; NumVGPRsForWavesPerEU: 38
; Occupancy: 16
; WaveLimiterHint : 1
; COMPUTE_PGM_RSRC2:SCRATCH_EN: 0
; COMPUTE_PGM_RSRC2:USER_SGPR: 6
; COMPUTE_PGM_RSRC2:TRAP_HANDLER: 0
; COMPUTE_PGM_RSRC2:TGID_X_EN: 1
; COMPUTE_PGM_RSRC2:TGID_Y_EN: 0
; COMPUTE_PGM_RSRC2:TGID_Z_EN: 0
; COMPUTE_PGM_RSRC2:TIDIG_COMP_CNT: 0
	.section	.text._ZN9rocsparseL22bsrxmvn_general_kernelILj256ELj16E21rocsparse_complex_numIdEliS2_S2_S2_EEv20rocsparse_direction_NS_24const_host_device_scalarIT1_EET3_PKS7_PKT2_SC_S9_PKT4_S7_PKT5_S6_PT6_21rocsparse_index_base_b,"axG",@progbits,_ZN9rocsparseL22bsrxmvn_general_kernelILj256ELj16E21rocsparse_complex_numIdEliS2_S2_S2_EEv20rocsparse_direction_NS_24const_host_device_scalarIT1_EET3_PKS7_PKT2_SC_S9_PKT4_S7_PKT5_S6_PT6_21rocsparse_index_base_b,comdat
	.globl	_ZN9rocsparseL22bsrxmvn_general_kernelILj256ELj16E21rocsparse_complex_numIdEliS2_S2_S2_EEv20rocsparse_direction_NS_24const_host_device_scalarIT1_EET3_PKS7_PKT2_SC_S9_PKT4_S7_PKT5_S6_PT6_21rocsparse_index_base_b ; -- Begin function _ZN9rocsparseL22bsrxmvn_general_kernelILj256ELj16E21rocsparse_complex_numIdEliS2_S2_S2_EEv20rocsparse_direction_NS_24const_host_device_scalarIT1_EET3_PKS7_PKT2_SC_S9_PKT4_S7_PKT5_S6_PT6_21rocsparse_index_base_b
	.p2align	8
	.type	_ZN9rocsparseL22bsrxmvn_general_kernelILj256ELj16E21rocsparse_complex_numIdEliS2_S2_S2_EEv20rocsparse_direction_NS_24const_host_device_scalarIT1_EET3_PKS7_PKT2_SC_S9_PKT4_S7_PKT5_S6_PT6_21rocsparse_index_base_b,@function
_ZN9rocsparseL22bsrxmvn_general_kernelILj256ELj16E21rocsparse_complex_numIdEliS2_S2_S2_EEv20rocsparse_direction_NS_24const_host_device_scalarIT1_EET3_PKS7_PKT2_SC_S9_PKT4_S7_PKT5_S6_PT6_21rocsparse_index_base_b: ; @_ZN9rocsparseL22bsrxmvn_general_kernelILj256ELj16E21rocsparse_complex_numIdEliS2_S2_S2_EEv20rocsparse_direction_NS_24const_host_device_scalarIT1_EET3_PKS7_PKT2_SC_S9_PKT4_S7_PKT5_S6_PT6_21rocsparse_index_base_b
; %bb.0:
	s_clause 0x1
	s_load_dwordx2 s[16:17], s[4:5], 0x70
	s_load_dwordx2 s[0:1], s[4:5], 0x8
	s_add_u32 s7, s4, 8
	s_addc_u32 s8, s5, 0
	s_add_u32 s9, s4, 0x58
	s_addc_u32 s10, s5, 0
	s_load_dwordx2 s[2:3], s[4:5], 0x58
	s_waitcnt lgkmcnt(0)
	s_bitcmp1_b32 s17, 0
	s_cselect_b32 s0, s7, s0
	s_cselect_b32 s1, s8, s1
	v_mov_b32_e32 v1, s0
	v_mov_b32_e32 v2, s1
	s_cselect_b32 s0, s9, s2
	s_cselect_b32 s1, s10, s3
	v_mov_b32_e32 v5, s0
	v_mov_b32_e32 v6, s1
	flat_load_dwordx4 v[1:4], v[1:2]
	flat_load_dwordx4 v[5:8], v[5:6]
	s_waitcnt vmcnt(1) lgkmcnt(1)
	v_cmp_eq_f64_e32 vcc_lo, 0, v[1:2]
	v_cmp_eq_f64_e64 s0, 0, v[3:4]
	s_and_b32 s2, vcc_lo, s0
	s_mov_b32 s0, -1
	s_and_saveexec_b32 s1, s2
	s_cbranch_execz .LBB22_2
; %bb.1:
	s_waitcnt vmcnt(0) lgkmcnt(0)
	v_cmp_neq_f64_e32 vcc_lo, 1.0, v[5:6]
	v_cmp_neq_f64_e64 s0, 0, v[7:8]
	s_or_b32 s0, vcc_lo, s0
	s_orn2_b32 s0, s0, exec_lo
.LBB22_2:
	s_or_b32 exec_lo, exec_lo, s1
	s_and_saveexec_b32 s1, s0
	s_cbranch_execz .LBB22_24
; %bb.3:
	s_load_dwordx2 s[0:1], s[4:5], 0x20
	s_waitcnt lgkmcnt(0)
	s_cmp_eq_u64 s[0:1], 0
	s_cbranch_scc1 .LBB22_5
; %bb.4:
	s_ashr_i32 s7, s6, 31
	s_lshl_b64 s[2:3], s[6:7], 2
	s_add_u32 s0, s0, s2
	s_addc_u32 s1, s1, s3
	s_load_dword s0, s[0:1], 0x0
	s_waitcnt lgkmcnt(0)
	s_sub_i32 s6, s0, s16
.LBB22_5:
	s_load_dword s17, s[4:5], 0x48
	v_lshrrev_b32_e32 v13, 4, v0
	s_waitcnt lgkmcnt(0)
	v_cmp_gt_i32_e32 vcc_lo, s17, v13
	s_and_b32 exec_lo, exec_lo, vcc_lo
	s_cbranch_execz .LBB22_24
; %bb.6:
	s_load_dwordx8 s[8:15], s[4:5], 0x28
	s_ashr_i32 s7, s6, 31
	v_mbcnt_lo_u32_b32 v9, -1, 0
	s_lshl_b64 s[26:27], s[6:7], 3
	s_load_dword s30, s[4:5], 0x0
	s_mul_i32 s25, s6, s17
	s_waitcnt vmcnt(0)
	v_cmp_eq_f64_e32 vcc_lo, 0, v[5:6]
	v_xor_b32_e32 v10, 8, v9
	v_xor_b32_e32 v11, 4, v9
	;; [unrolled: 1-line block ×3, first 2 shown]
	v_cmp_eq_f64_e64 s2, 0, v[7:8]
	v_xor_b32_e32 v14, 1, v9
	v_and_b32_e32 v15, 15, v0
	s_mul_hi_u32 s23, s17, s17
	s_mul_i32 s24, s17, s17
	v_mul_lo_u32 v0, s17, v13
	v_mov_b32_e32 v16, 0
	v_mul_lo_u32 v23, s17, v15
	v_cmp_gt_u32_e64 s0, s17, v15
	s_mov_b32 s22, 0
	s_waitcnt lgkmcnt(0)
	s_add_u32 s28, s8, s26
	s_addc_u32 s29, s9, s27
	s_load_dwordx2 s[20:21], s[28:29], 0x0
	s_clause 0x1
	s_load_dwordx2 s[8:9], s[4:5], 0x68
	s_load_dwordx2 s[18:19], s[4:5], 0x50
	s_waitcnt lgkmcnt(0)
	s_sub_u32 s4, s20, s16
	s_subb_u32 s5, s21, 0
	s_add_u32 s1, s28, 8
	s_addc_u32 s3, s29, 0
	s_add_u32 s6, s10, s26
	s_addc_u32 s7, s11, s27
	s_cmp_eq_u64 s[10:11], 0
	s_mul_hi_u32 s28, s4, s24
	s_cselect_b32 s7, s3, s7
	s_cselect_b32 s6, s1, s6
	v_cmp_gt_i32_e64 s3, 32, v10
	s_load_dwordx2 s[26:27], s[6:7], 0x0
	v_cmp_eq_u32_e64 s1, 15, v15
	s_mul_i32 s29, s5, s24
	s_mul_i32 s10, s4, s24
	v_cndmask_b32_e64 v10, v9, v10, s3
	v_cmp_gt_i32_e64 s3, 32, v11
	v_lshlrev_b32_e32 v24, 2, v10
	v_cndmask_b32_e64 v11, v9, v11, s3
	v_cmp_gt_i32_e64 s3, 32, v12
	v_lshlrev_b32_e32 v25, 2, v11
	v_cndmask_b32_e64 v12, v9, v12, s3
	v_cmp_gt_i32_e64 s3, 32, v14
	s_waitcnt lgkmcnt(0)
	s_sub_u32 s6, s26, s16
	s_subb_u32 s7, s27, 0
	v_cndmask_b32_e64 v9, v9, v14, s3
	s_mul_i32 s3, s4, s23
	s_cmp_lg_u32 s30, 0
	v_cmp_lt_i64_e64 s11, s[20:21], s[26:27]
	v_lshlrev_b32_e32 v26, 2, v12
	v_lshlrev_b32_e32 v27, 2, v9
	s_cselect_b32 s20, -1, 0
	s_add_i32 s3, s28, s3
	s_and_b32 s21, vcc_lo, s2
	s_add_i32 s26, s3, s29
	s_lshl_b32 s27, s17, 4
	s_branch .LBB22_8
.LBB22_7:                               ;   in Loop: Header=BB22_8 Depth=1
	s_or_b32 exec_lo, exec_lo, s2
	v_add_nc_u32_e32 v13, 16, v13
	v_add_nc_u32_e32 v0, s27, v0
	v_cmp_le_i32_e32 vcc_lo, s17, v13
	s_or_b32 s22, vcc_lo, s22
	s_andn2_b32 exec_lo, exec_lo, s22
	s_cbranch_execz .LBB22_24
.LBB22_8:                               ; =>This Loop Header: Depth=1
                                        ;     Child Loop BB22_12 Depth 2
                                        ;       Child Loop BB22_15 Depth 3
	v_mov_b32_e32 v9, 0
	v_mov_b32_e32 v11, 0
	;; [unrolled: 1-line block ×4, first 2 shown]
	s_andn2_b32 vcc_lo, exec_lo, s11
	s_cbranch_vccnz .LBB22_19
; %bb.9:                                ;   in Loop: Header=BB22_8 Depth=1
	v_ashrrev_i32_e32 v11, 31, v0
	v_add_co_u32 v28, vcc_lo, s10, v0
	v_mov_b32_e32 v9, 0
	v_mov_b32_e32 v10, 0
	v_add_co_ci_u32_e64 v29, null, s26, v11, vcc_lo
	v_mov_b32_e32 v11, 0
	v_mov_b32_e32 v12, 0
	v_ashrrev_i32_e32 v14, 31, v13
	s_mov_b64 s[2:3], s[4:5]
	s_branch .LBB22_12
.LBB22_10:                              ;   in Loop: Header=BB22_12 Depth=2
	s_or_b32 exec_lo, exec_lo, s29
.LBB22_11:                              ;   in Loop: Header=BB22_12 Depth=2
	s_or_b32 exec_lo, exec_lo, s28
	s_add_u32 s2, s2, 1
	s_addc_u32 s3, s3, 0
	v_add_co_u32 v28, vcc_lo, v28, s24
	v_cmp_ge_i64_e64 s28, s[2:3], s[6:7]
	v_add_co_ci_u32_e64 v29, null, s23, v29, vcc_lo
	s_and_b32 vcc_lo, exec_lo, s28
	s_cbranch_vccnz .LBB22_19
.LBB22_12:                              ;   Parent Loop BB22_8 Depth=1
                                        ; =>  This Loop Header: Depth=2
                                        ;       Child Loop BB22_15 Depth 3
	s_and_saveexec_b32 s28, s0
	s_cbranch_execz .LBB22_11
; %bb.13:                               ;   in Loop: Header=BB22_12 Depth=2
	s_lshl_b64 s[30:31], s[2:3], 2
	s_waitcnt lgkmcnt(2)
	v_mad_u64_u32 v[17:18], null, s24, s2, v[13:14]
	s_add_u32 s30, s12, s30
	s_addc_u32 s31, s13, s31
	s_waitcnt lgkmcnt(0)
	v_mov_b32_e32 v20, v16
	s_load_dword s29, s[30:31], 0x0
	s_mul_i32 s30, s23, s2
	s_mul_i32 s31, s24, s3
	v_mov_b32_e32 v30, v23
	v_mov_b32_e32 v19, v15
	v_add3_u32 v18, s31, s30, v18
	s_waitcnt lgkmcnt(0)
	s_sub_i32 s29, s29, s16
	s_mul_i32 s30, s29, s17
	s_mov_b32 s29, 0
	s_branch .LBB22_15
.LBB22_14:                              ;   in Loop: Header=BB22_15 Depth=3
	v_add_nc_u32_e32 v31, s30, v19
	v_lshlrev_b64 v[21:22], 4, v[21:22]
	v_add_nc_u32_e32 v30, s27, v30
	v_ashrrev_i32_e32 v32, 31, v31
	v_add_co_u32 v21, vcc_lo, s14, v21
	v_add_co_ci_u32_e64 v22, null, s15, v22, vcc_lo
	v_lshlrev_b64 v[31:32], 4, v[31:32]
	v_add_co_u32 v35, vcc_lo, s18, v31
	v_add_co_ci_u32_e64 v36, null, s19, v32, vcc_lo
	v_add_co_u32 v19, vcc_lo, v19, 16
	global_load_dwordx4 v[31:34], v[21:22], off
	global_load_dwordx4 v[35:38], v[35:36], off
	v_add_co_ci_u32_e64 v20, null, 0, v20, vcc_lo
	v_cmp_le_i32_e32 vcc_lo, s17, v19
	s_or_b32 s29, vcc_lo, s29
	s_waitcnt vmcnt(0)
	v_fma_f64 v[11:12], v[31:32], v[35:36], v[11:12]
	v_fma_f64 v[9:10], v[33:34], v[35:36], v[9:10]
	v_fma_f64 v[11:12], -v[33:34], v[37:38], v[11:12]
	v_fma_f64 v[9:10], v[31:32], v[37:38], v[9:10]
	s_andn2_b32 exec_lo, exec_lo, s29
	s_cbranch_execz .LBB22_10
.LBB22_15:                              ;   Parent Loop BB22_8 Depth=1
                                        ;     Parent Loop BB22_12 Depth=2
                                        ; =>    This Inner Loop Header: Depth=3
	s_and_b32 vcc_lo, exec_lo, s20
	s_cbranch_vccz .LBB22_17
; %bb.16:                               ;   in Loop: Header=BB22_15 Depth=3
	v_ashrrev_i32_e32 v22, 31, v30
	v_add_co_u32 v21, vcc_lo, v17, v30
	v_add_co_ci_u32_e64 v22, null, v18, v22, vcc_lo
	s_cbranch_execnz .LBB22_14
	s_branch .LBB22_18
.LBB22_17:                              ;   in Loop: Header=BB22_15 Depth=3
                                        ; implicit-def: $vgpr21_vgpr22
.LBB22_18:                              ;   in Loop: Header=BB22_15 Depth=3
	v_add_co_u32 v21, vcc_lo, v28, v19
	v_add_co_ci_u32_e64 v22, null, v29, v20, vcc_lo
	s_branch .LBB22_14
.LBB22_19:                              ;   in Loop: Header=BB22_8 Depth=1
	s_waitcnt lgkmcnt(3)
	ds_bpermute_b32 v17, v24, v11
	s_waitcnt lgkmcnt(3)
	ds_bpermute_b32 v18, v24, v12
	;; [unrolled: 2-line block ×4, first 2 shown]
	s_waitcnt lgkmcnt(2)
	v_add_f64 v[11:12], v[11:12], v[17:18]
	s_waitcnt lgkmcnt(0)
	v_add_f64 v[9:10], v[9:10], v[19:20]
	ds_bpermute_b32 v17, v25, v11
	ds_bpermute_b32 v18, v25, v12
	ds_bpermute_b32 v19, v25, v9
	ds_bpermute_b32 v20, v25, v10
	s_waitcnt lgkmcnt(2)
	v_add_f64 v[11:12], v[11:12], v[17:18]
	s_waitcnt lgkmcnt(0)
	v_add_f64 v[17:18], v[9:10], v[19:20]
	ds_bpermute_b32 v9, v26, v11
	ds_bpermute_b32 v10, v26, v12
	ds_bpermute_b32 v19, v26, v17
	ds_bpermute_b32 v20, v26, v18
	;; [unrolled: 8-line block ×3, first 2 shown]
	s_and_saveexec_b32 s2, s1
	s_cbranch_execz .LBB22_7
; %bb.20:                               ;   in Loop: Header=BB22_8 Depth=1
	s_waitcnt lgkmcnt(0)
	v_add_f64 v[11:12], v[11:12], v[19:20]
	v_add_f64 v[17:18], v[9:10], v[17:18]
	v_mul_f64 v[9:10], v[11:12], -v[3:4]
	v_mul_f64 v[11:12], v[1:2], v[11:12]
	v_fma_f64 v[9:10], v[1:2], v[17:18], v[9:10]
	v_fma_f64 v[11:12], v[3:4], v[17:18], v[11:12]
	v_add_nc_u32_e32 v17, s25, v13
	v_ashrrev_i32_e32 v18, 31, v17
	s_and_saveexec_b32 s3, s21
	s_xor_b32 s3, exec_lo, s3
	s_cbranch_execz .LBB22_22
; %bb.21:                               ;   in Loop: Header=BB22_8 Depth=1
	v_lshlrev_b64 v[17:18], 4, v[17:18]
	v_add_co_u32 v17, vcc_lo, s8, v17
	v_add_co_ci_u32_e64 v18, null, s9, v18, vcc_lo
	global_store_dwordx4 v[17:18], v[9:12], off
                                        ; implicit-def: $vgpr17
                                        ; implicit-def: $vgpr9_vgpr10
.LBB22_22:                              ;   in Loop: Header=BB22_8 Depth=1
	s_andn2_saveexec_b32 s3, s3
	s_cbranch_execz .LBB22_7
; %bb.23:                               ;   in Loop: Header=BB22_8 Depth=1
	v_lshlrev_b64 v[17:18], 4, v[17:18]
	v_add_co_u32 v21, vcc_lo, s8, v17
	v_add_co_ci_u32_e64 v22, null, s9, v18, vcc_lo
	global_load_dwordx4 v[17:20], v[21:22], off
	s_waitcnt vmcnt(0)
	v_fma_f64 v[9:10], v[5:6], v[17:18], v[9:10]
	v_fma_f64 v[11:12], v[7:8], v[17:18], v[11:12]
	v_fma_f64 v[9:10], -v[7:8], v[19:20], v[9:10]
	v_fma_f64 v[11:12], v[5:6], v[19:20], v[11:12]
	global_store_dwordx4 v[21:22], v[9:12], off
	s_branch .LBB22_7
.LBB22_24:
	s_endpgm
	.section	.rodata,"a",@progbits
	.p2align	6, 0x0
	.amdhsa_kernel _ZN9rocsparseL22bsrxmvn_general_kernelILj256ELj16E21rocsparse_complex_numIdEliS2_S2_S2_EEv20rocsparse_direction_NS_24const_host_device_scalarIT1_EET3_PKS7_PKT2_SC_S9_PKT4_S7_PKT5_S6_PT6_21rocsparse_index_base_b
		.amdhsa_group_segment_fixed_size 0
		.amdhsa_private_segment_fixed_size 0
		.amdhsa_kernarg_size 120
		.amdhsa_user_sgpr_count 6
		.amdhsa_user_sgpr_private_segment_buffer 1
		.amdhsa_user_sgpr_dispatch_ptr 0
		.amdhsa_user_sgpr_queue_ptr 0
		.amdhsa_user_sgpr_kernarg_segment_ptr 1
		.amdhsa_user_sgpr_dispatch_id 0
		.amdhsa_user_sgpr_flat_scratch_init 0
		.amdhsa_user_sgpr_private_segment_size 0
		.amdhsa_wavefront_size32 1
		.amdhsa_uses_dynamic_stack 0
		.amdhsa_system_sgpr_private_segment_wavefront_offset 0
		.amdhsa_system_sgpr_workgroup_id_x 1
		.amdhsa_system_sgpr_workgroup_id_y 0
		.amdhsa_system_sgpr_workgroup_id_z 0
		.amdhsa_system_sgpr_workgroup_info 0
		.amdhsa_system_vgpr_workitem_id 0
		.amdhsa_next_free_vgpr 39
		.amdhsa_next_free_sgpr 32
		.amdhsa_reserve_vcc 1
		.amdhsa_reserve_flat_scratch 0
		.amdhsa_float_round_mode_32 0
		.amdhsa_float_round_mode_16_64 0
		.amdhsa_float_denorm_mode_32 3
		.amdhsa_float_denorm_mode_16_64 3
		.amdhsa_dx10_clamp 1
		.amdhsa_ieee_mode 1
		.amdhsa_fp16_overflow 0
		.amdhsa_workgroup_processor_mode 1
		.amdhsa_memory_ordered 1
		.amdhsa_forward_progress 1
		.amdhsa_shared_vgpr_count 0
		.amdhsa_exception_fp_ieee_invalid_op 0
		.amdhsa_exception_fp_denorm_src 0
		.amdhsa_exception_fp_ieee_div_zero 0
		.amdhsa_exception_fp_ieee_overflow 0
		.amdhsa_exception_fp_ieee_underflow 0
		.amdhsa_exception_fp_ieee_inexact 0
		.amdhsa_exception_int_div_zero 0
	.end_amdhsa_kernel
	.section	.text._ZN9rocsparseL22bsrxmvn_general_kernelILj256ELj16E21rocsparse_complex_numIdEliS2_S2_S2_EEv20rocsparse_direction_NS_24const_host_device_scalarIT1_EET3_PKS7_PKT2_SC_S9_PKT4_S7_PKT5_S6_PT6_21rocsparse_index_base_b,"axG",@progbits,_ZN9rocsparseL22bsrxmvn_general_kernelILj256ELj16E21rocsparse_complex_numIdEliS2_S2_S2_EEv20rocsparse_direction_NS_24const_host_device_scalarIT1_EET3_PKS7_PKT2_SC_S9_PKT4_S7_PKT5_S6_PT6_21rocsparse_index_base_b,comdat
.Lfunc_end22:
	.size	_ZN9rocsparseL22bsrxmvn_general_kernelILj256ELj16E21rocsparse_complex_numIdEliS2_S2_S2_EEv20rocsparse_direction_NS_24const_host_device_scalarIT1_EET3_PKS7_PKT2_SC_S9_PKT4_S7_PKT5_S6_PT6_21rocsparse_index_base_b, .Lfunc_end22-_ZN9rocsparseL22bsrxmvn_general_kernelILj256ELj16E21rocsparse_complex_numIdEliS2_S2_S2_EEv20rocsparse_direction_NS_24const_host_device_scalarIT1_EET3_PKS7_PKT2_SC_S9_PKT4_S7_PKT5_S6_PT6_21rocsparse_index_base_b
                                        ; -- End function
	.set _ZN9rocsparseL22bsrxmvn_general_kernelILj256ELj16E21rocsparse_complex_numIdEliS2_S2_S2_EEv20rocsparse_direction_NS_24const_host_device_scalarIT1_EET3_PKS7_PKT2_SC_S9_PKT4_S7_PKT5_S6_PT6_21rocsparse_index_base_b.num_vgpr, 39
	.set _ZN9rocsparseL22bsrxmvn_general_kernelILj256ELj16E21rocsparse_complex_numIdEliS2_S2_S2_EEv20rocsparse_direction_NS_24const_host_device_scalarIT1_EET3_PKS7_PKT2_SC_S9_PKT4_S7_PKT5_S6_PT6_21rocsparse_index_base_b.num_agpr, 0
	.set _ZN9rocsparseL22bsrxmvn_general_kernelILj256ELj16E21rocsparse_complex_numIdEliS2_S2_S2_EEv20rocsparse_direction_NS_24const_host_device_scalarIT1_EET3_PKS7_PKT2_SC_S9_PKT4_S7_PKT5_S6_PT6_21rocsparse_index_base_b.numbered_sgpr, 32
	.set _ZN9rocsparseL22bsrxmvn_general_kernelILj256ELj16E21rocsparse_complex_numIdEliS2_S2_S2_EEv20rocsparse_direction_NS_24const_host_device_scalarIT1_EET3_PKS7_PKT2_SC_S9_PKT4_S7_PKT5_S6_PT6_21rocsparse_index_base_b.num_named_barrier, 0
	.set _ZN9rocsparseL22bsrxmvn_general_kernelILj256ELj16E21rocsparse_complex_numIdEliS2_S2_S2_EEv20rocsparse_direction_NS_24const_host_device_scalarIT1_EET3_PKS7_PKT2_SC_S9_PKT4_S7_PKT5_S6_PT6_21rocsparse_index_base_b.private_seg_size, 0
	.set _ZN9rocsparseL22bsrxmvn_general_kernelILj256ELj16E21rocsparse_complex_numIdEliS2_S2_S2_EEv20rocsparse_direction_NS_24const_host_device_scalarIT1_EET3_PKS7_PKT2_SC_S9_PKT4_S7_PKT5_S6_PT6_21rocsparse_index_base_b.uses_vcc, 1
	.set _ZN9rocsparseL22bsrxmvn_general_kernelILj256ELj16E21rocsparse_complex_numIdEliS2_S2_S2_EEv20rocsparse_direction_NS_24const_host_device_scalarIT1_EET3_PKS7_PKT2_SC_S9_PKT4_S7_PKT5_S6_PT6_21rocsparse_index_base_b.uses_flat_scratch, 0
	.set _ZN9rocsparseL22bsrxmvn_general_kernelILj256ELj16E21rocsparse_complex_numIdEliS2_S2_S2_EEv20rocsparse_direction_NS_24const_host_device_scalarIT1_EET3_PKS7_PKT2_SC_S9_PKT4_S7_PKT5_S6_PT6_21rocsparse_index_base_b.has_dyn_sized_stack, 0
	.set _ZN9rocsparseL22bsrxmvn_general_kernelILj256ELj16E21rocsparse_complex_numIdEliS2_S2_S2_EEv20rocsparse_direction_NS_24const_host_device_scalarIT1_EET3_PKS7_PKT2_SC_S9_PKT4_S7_PKT5_S6_PT6_21rocsparse_index_base_b.has_recursion, 0
	.set _ZN9rocsparseL22bsrxmvn_general_kernelILj256ELj16E21rocsparse_complex_numIdEliS2_S2_S2_EEv20rocsparse_direction_NS_24const_host_device_scalarIT1_EET3_PKS7_PKT2_SC_S9_PKT4_S7_PKT5_S6_PT6_21rocsparse_index_base_b.has_indirect_call, 0
	.section	.AMDGPU.csdata,"",@progbits
; Kernel info:
; codeLenInByte = 1464
; TotalNumSgprs: 34
; NumVgprs: 39
; ScratchSize: 0
; MemoryBound: 0
; FloatMode: 240
; IeeeMode: 1
; LDSByteSize: 0 bytes/workgroup (compile time only)
; SGPRBlocks: 0
; VGPRBlocks: 4
; NumSGPRsForWavesPerEU: 34
; NumVGPRsForWavesPerEU: 39
; Occupancy: 16
; WaveLimiterHint : 1
; COMPUTE_PGM_RSRC2:SCRATCH_EN: 0
; COMPUTE_PGM_RSRC2:USER_SGPR: 6
; COMPUTE_PGM_RSRC2:TRAP_HANDLER: 0
; COMPUTE_PGM_RSRC2:TGID_X_EN: 1
; COMPUTE_PGM_RSRC2:TGID_Y_EN: 0
; COMPUTE_PGM_RSRC2:TGID_Z_EN: 0
; COMPUTE_PGM_RSRC2:TIDIG_COMP_CNT: 0
	.section	.text._ZN9rocsparseL22bsrxmvn_general_kernelILj1024ELj32E21rocsparse_complex_numIdEliS2_S2_S2_EEv20rocsparse_direction_NS_24const_host_device_scalarIT1_EET3_PKS7_PKT2_SC_S9_PKT4_S7_PKT5_S6_PT6_21rocsparse_index_base_b,"axG",@progbits,_ZN9rocsparseL22bsrxmvn_general_kernelILj1024ELj32E21rocsparse_complex_numIdEliS2_S2_S2_EEv20rocsparse_direction_NS_24const_host_device_scalarIT1_EET3_PKS7_PKT2_SC_S9_PKT4_S7_PKT5_S6_PT6_21rocsparse_index_base_b,comdat
	.globl	_ZN9rocsparseL22bsrxmvn_general_kernelILj1024ELj32E21rocsparse_complex_numIdEliS2_S2_S2_EEv20rocsparse_direction_NS_24const_host_device_scalarIT1_EET3_PKS7_PKT2_SC_S9_PKT4_S7_PKT5_S6_PT6_21rocsparse_index_base_b ; -- Begin function _ZN9rocsparseL22bsrxmvn_general_kernelILj1024ELj32E21rocsparse_complex_numIdEliS2_S2_S2_EEv20rocsparse_direction_NS_24const_host_device_scalarIT1_EET3_PKS7_PKT2_SC_S9_PKT4_S7_PKT5_S6_PT6_21rocsparse_index_base_b
	.p2align	8
	.type	_ZN9rocsparseL22bsrxmvn_general_kernelILj1024ELj32E21rocsparse_complex_numIdEliS2_S2_S2_EEv20rocsparse_direction_NS_24const_host_device_scalarIT1_EET3_PKS7_PKT2_SC_S9_PKT4_S7_PKT5_S6_PT6_21rocsparse_index_base_b,@function
_ZN9rocsparseL22bsrxmvn_general_kernelILj1024ELj32E21rocsparse_complex_numIdEliS2_S2_S2_EEv20rocsparse_direction_NS_24const_host_device_scalarIT1_EET3_PKS7_PKT2_SC_S9_PKT4_S7_PKT5_S6_PT6_21rocsparse_index_base_b: ; @_ZN9rocsparseL22bsrxmvn_general_kernelILj1024ELj32E21rocsparse_complex_numIdEliS2_S2_S2_EEv20rocsparse_direction_NS_24const_host_device_scalarIT1_EET3_PKS7_PKT2_SC_S9_PKT4_S7_PKT5_S6_PT6_21rocsparse_index_base_b
; %bb.0:
	s_clause 0x1
	s_load_dwordx2 s[16:17], s[4:5], 0x70
	s_load_dwordx2 s[0:1], s[4:5], 0x8
	s_add_u32 s7, s4, 8
	s_addc_u32 s8, s5, 0
	s_add_u32 s9, s4, 0x58
	s_addc_u32 s10, s5, 0
	s_load_dwordx2 s[2:3], s[4:5], 0x58
	s_waitcnt lgkmcnt(0)
	s_bitcmp1_b32 s17, 0
	s_cselect_b32 s0, s7, s0
	s_cselect_b32 s1, s8, s1
	v_mov_b32_e32 v1, s0
	v_mov_b32_e32 v2, s1
	s_cselect_b32 s0, s9, s2
	s_cselect_b32 s1, s10, s3
	v_mov_b32_e32 v5, s0
	v_mov_b32_e32 v6, s1
	flat_load_dwordx4 v[1:4], v[1:2]
	flat_load_dwordx4 v[5:8], v[5:6]
	s_waitcnt vmcnt(1) lgkmcnt(1)
	v_cmp_eq_f64_e32 vcc_lo, 0, v[1:2]
	v_cmp_eq_f64_e64 s0, 0, v[3:4]
	s_and_b32 s2, vcc_lo, s0
	s_mov_b32 s0, -1
	s_and_saveexec_b32 s1, s2
	s_cbranch_execz .LBB23_2
; %bb.1:
	s_waitcnt vmcnt(0) lgkmcnt(0)
	v_cmp_neq_f64_e32 vcc_lo, 1.0, v[5:6]
	v_cmp_neq_f64_e64 s0, 0, v[7:8]
	s_or_b32 s0, vcc_lo, s0
	s_orn2_b32 s0, s0, exec_lo
.LBB23_2:
	s_or_b32 exec_lo, exec_lo, s1
	s_and_saveexec_b32 s1, s0
	s_cbranch_execz .LBB23_24
; %bb.3:
	s_load_dwordx2 s[0:1], s[4:5], 0x20
	s_waitcnt lgkmcnt(0)
	s_cmp_eq_u64 s[0:1], 0
	s_cbranch_scc1 .LBB23_5
; %bb.4:
	s_ashr_i32 s7, s6, 31
	s_lshl_b64 s[2:3], s[6:7], 2
	s_add_u32 s0, s0, s2
	s_addc_u32 s1, s1, s3
	s_load_dword s0, s[0:1], 0x0
	s_waitcnt lgkmcnt(0)
	s_sub_i32 s6, s0, s16
.LBB23_5:
	s_load_dword s17, s[4:5], 0x48
	v_lshrrev_b32_e32 v13, 5, v0
	s_waitcnt lgkmcnt(0)
	v_cmp_gt_i32_e32 vcc_lo, s17, v13
	s_and_b32 exec_lo, exec_lo, vcc_lo
	s_cbranch_execz .LBB23_24
; %bb.6:
	s_load_dwordx8 s[8:15], s[4:5], 0x28
	s_ashr_i32 s7, s6, 31
	v_mbcnt_lo_u32_b32 v9, -1, 0
	s_lshl_b64 s[26:27], s[6:7], 3
	s_load_dword s30, s[4:5], 0x0
	s_mul_i32 s25, s6, s17
	s_waitcnt vmcnt(0)
	v_cmp_eq_f64_e32 vcc_lo, 0, v[5:6]
	v_xor_b32_e32 v10, 16, v9
	v_xor_b32_e32 v11, 8, v9
	;; [unrolled: 1-line block ×4, first 2 shown]
	v_cmp_eq_f64_e64 s2, 0, v[7:8]
	v_xor_b32_e32 v18, 1, v9
	v_and_b32_e32 v15, 31, v0
	v_mov_b32_e32 v14, 0
	s_mul_hi_u32 s23, s17, s17
	s_mul_i32 s24, s17, s17
	v_mul_lo_u32 v0, s17, v13
	v_mul_lo_u32 v23, s17, v15
	v_cmp_gt_u32_e64 s0, s17, v15
	s_waitcnt lgkmcnt(0)
	s_add_u32 s28, s8, s26
	s_addc_u32 s29, s9, s27
	v_cmp_eq_u32_e64 s1, 31, v15
	s_load_dwordx2 s[20:21], s[28:29], 0x0
	s_clause 0x1
	s_load_dwordx2 s[8:9], s[4:5], 0x68
	s_load_dwordx2 s[18:19], s[4:5], 0x50
	v_mov_b32_e32 v16, v14
	s_mov_b32 s22, 0
	s_waitcnt lgkmcnt(0)
	s_sub_u32 s4, s20, s16
	s_subb_u32 s5, s21, 0
	s_add_u32 s3, s28, 8
	s_addc_u32 s6, s29, 0
	s_add_u32 s26, s10, s26
	s_addc_u32 s7, s11, s27
	s_cmp_eq_u64 s[10:11], 0
	s_mul_hi_u32 s28, s4, s24
	s_cselect_b32 s7, s6, s7
	s_cselect_b32 s6, s3, s26
	v_cmp_gt_i32_e64 s3, 32, v10
	s_load_dwordx2 s[26:27], s[6:7], 0x0
	s_mul_i32 s29, s5, s24
	s_mul_i32 s10, s4, s24
	v_cndmask_b32_e64 v10, v9, v10, s3
	v_cmp_gt_i32_e64 s3, 32, v11
	v_lshlrev_b32_e32 v24, 2, v10
	v_cndmask_b32_e64 v11, v9, v11, s3
	v_cmp_gt_i32_e64 s3, 32, v12
	v_lshlrev_b32_e32 v25, 2, v11
	v_cndmask_b32_e64 v12, v9, v12, s3
	v_cmp_gt_i32_e64 s3, 32, v17
	s_waitcnt lgkmcnt(0)
	s_sub_u32 s6, s26, s16
	s_subb_u32 s7, s27, 0
	v_cndmask_b32_e64 v17, v9, v17, s3
	v_cmp_gt_i32_e64 s3, 32, v18
	s_cmp_lg_u32 s30, 0
	v_cmp_lt_i64_e64 s11, s[20:21], s[26:27]
	v_lshlrev_b32_e32 v26, 2, v12
	v_lshlrev_b32_e32 v27, 2, v17
	v_cndmask_b32_e64 v9, v9, v18, s3
	s_mul_i32 s3, s4, s23
	s_cselect_b32 s20, -1, 0
	s_add_i32 s3, s28, s3
	s_and_b32 s21, vcc_lo, s2
	v_lshlrev_b32_e32 v28, 2, v9
	s_add_i32 s26, s3, s29
	s_lshl_b32 s27, s17, 5
	s_branch .LBB23_8
.LBB23_7:                               ;   in Loop: Header=BB23_8 Depth=1
	s_or_b32 exec_lo, exec_lo, s2
	v_add_nc_u32_e32 v13, 32, v13
	v_add_nc_u32_e32 v0, s27, v0
	v_cmp_le_i32_e32 vcc_lo, s17, v13
	s_or_b32 s22, vcc_lo, s22
	s_andn2_b32 exec_lo, exec_lo, s22
	s_cbranch_execz .LBB23_24
.LBB23_8:                               ; =>This Loop Header: Depth=1
                                        ;     Child Loop BB23_12 Depth 2
                                        ;       Child Loop BB23_15 Depth 3
	v_mov_b32_e32 v9, 0
	v_mov_b32_e32 v11, 0
	;; [unrolled: 1-line block ×4, first 2 shown]
	s_andn2_b32 vcc_lo, exec_lo, s11
	s_cbranch_vccnz .LBB23_19
; %bb.9:                                ;   in Loop: Header=BB23_8 Depth=1
	s_waitcnt lgkmcnt(3)
	v_ashrrev_i32_e32 v17, 31, v0
	v_add_co_u32 v29, vcc_lo, s10, v0
	v_mov_b32_e32 v9, 0
	v_mov_b32_e32 v11, 0
	v_mov_b32_e32 v10, 0
	v_mov_b32_e32 v12, 0
	v_add_co_ci_u32_e64 v30, null, s26, v17, vcc_lo
	s_mov_b64 s[2:3], s[4:5]
	s_branch .LBB23_12
.LBB23_10:                              ;   in Loop: Header=BB23_12 Depth=2
	s_or_b32 exec_lo, exec_lo, s29
.LBB23_11:                              ;   in Loop: Header=BB23_12 Depth=2
	s_or_b32 exec_lo, exec_lo, s28
	s_add_u32 s2, s2, 1
	s_addc_u32 s3, s3, 0
	v_add_co_u32 v29, vcc_lo, v29, s24
	v_cmp_ge_i64_e64 s28, s[2:3], s[6:7]
	v_add_co_ci_u32_e64 v30, null, s23, v30, vcc_lo
	s_and_b32 vcc_lo, exec_lo, s28
	s_cbranch_vccnz .LBB23_19
.LBB23_12:                              ;   Parent Loop BB23_8 Depth=1
                                        ; =>  This Loop Header: Depth=2
                                        ;       Child Loop BB23_15 Depth 3
	s_and_saveexec_b32 s28, s0
	s_cbranch_execz .LBB23_11
; %bb.13:                               ;   in Loop: Header=BB23_12 Depth=2
	s_lshl_b64 s[30:31], s[2:3], 2
	s_waitcnt lgkmcnt(2)
	v_mad_u64_u32 v[17:18], null, s24, s2, v[13:14]
	s_add_u32 s30, s12, s30
	s_addc_u32 s31, s13, s31
	s_waitcnt lgkmcnt(0)
	v_mov_b32_e32 v20, v16
	s_load_dword s29, s[30:31], 0x0
	s_mul_i32 s30, s23, s2
	s_mul_i32 s31, s24, s3
	v_mov_b32_e32 v31, v23
	v_mov_b32_e32 v19, v15
	v_add3_u32 v18, s31, s30, v18
	s_waitcnt lgkmcnt(0)
	s_sub_i32 s29, s29, s16
	s_mul_i32 s30, s29, s17
	s_mov_b32 s29, 0
	s_branch .LBB23_15
.LBB23_14:                              ;   in Loop: Header=BB23_15 Depth=3
	v_add_nc_u32_e32 v32, s30, v19
	v_lshlrev_b64 v[21:22], 4, v[21:22]
	v_add_nc_u32_e32 v31, s27, v31
	v_ashrrev_i32_e32 v33, 31, v32
	v_add_co_u32 v21, vcc_lo, s14, v21
	v_add_co_ci_u32_e64 v22, null, s15, v22, vcc_lo
	v_lshlrev_b64 v[32:33], 4, v[32:33]
	v_add_co_u32 v36, vcc_lo, s18, v32
	v_add_co_ci_u32_e64 v37, null, s19, v33, vcc_lo
	v_add_co_u32 v19, vcc_lo, v19, 32
	global_load_dwordx4 v[32:35], v[21:22], off
	global_load_dwordx4 v[36:39], v[36:37], off
	v_add_co_ci_u32_e64 v20, null, 0, v20, vcc_lo
	v_cmp_le_i32_e32 vcc_lo, s17, v19
	s_or_b32 s29, vcc_lo, s29
	s_waitcnt vmcnt(0)
	v_fma_f64 v[11:12], v[32:33], v[36:37], v[11:12]
	v_fma_f64 v[9:10], v[34:35], v[36:37], v[9:10]
	v_fma_f64 v[11:12], -v[34:35], v[38:39], v[11:12]
	v_fma_f64 v[9:10], v[32:33], v[38:39], v[9:10]
	s_andn2_b32 exec_lo, exec_lo, s29
	s_cbranch_execz .LBB23_10
.LBB23_15:                              ;   Parent Loop BB23_8 Depth=1
                                        ;     Parent Loop BB23_12 Depth=2
                                        ; =>    This Inner Loop Header: Depth=3
	s_and_b32 vcc_lo, exec_lo, s20
	s_cbranch_vccz .LBB23_17
; %bb.16:                               ;   in Loop: Header=BB23_15 Depth=3
	v_ashrrev_i32_e32 v22, 31, v31
	v_add_co_u32 v21, vcc_lo, v17, v31
	v_add_co_ci_u32_e64 v22, null, v18, v22, vcc_lo
	s_cbranch_execnz .LBB23_14
	s_branch .LBB23_18
.LBB23_17:                              ;   in Loop: Header=BB23_15 Depth=3
                                        ; implicit-def: $vgpr21_vgpr22
.LBB23_18:                              ;   in Loop: Header=BB23_15 Depth=3
	v_add_co_u32 v21, vcc_lo, v29, v19
	v_add_co_ci_u32_e64 v22, null, v30, v20, vcc_lo
	s_branch .LBB23_14
.LBB23_19:                              ;   in Loop: Header=BB23_8 Depth=1
	s_waitcnt lgkmcnt(3)
	ds_bpermute_b32 v17, v24, v11
	s_waitcnt lgkmcnt(3)
	ds_bpermute_b32 v18, v24, v12
	;; [unrolled: 2-line block ×4, first 2 shown]
	s_waitcnt lgkmcnt(2)
	v_add_f64 v[11:12], v[11:12], v[17:18]
	s_waitcnt lgkmcnt(0)
	v_add_f64 v[9:10], v[9:10], v[19:20]
	ds_bpermute_b32 v17, v25, v11
	ds_bpermute_b32 v18, v25, v12
	ds_bpermute_b32 v19, v25, v9
	ds_bpermute_b32 v20, v25, v10
	s_waitcnt lgkmcnt(2)
	v_add_f64 v[11:12], v[11:12], v[17:18]
	s_waitcnt lgkmcnt(0)
	v_add_f64 v[9:10], v[9:10], v[19:20]
	ds_bpermute_b32 v17, v26, v11
	ds_bpermute_b32 v18, v26, v12
	ds_bpermute_b32 v19, v26, v9
	ds_bpermute_b32 v20, v26, v10
	s_waitcnt lgkmcnt(2)
	v_add_f64 v[11:12], v[11:12], v[17:18]
	s_waitcnt lgkmcnt(0)
	v_add_f64 v[17:18], v[9:10], v[19:20]
	ds_bpermute_b32 v9, v27, v11
	ds_bpermute_b32 v10, v27, v12
	ds_bpermute_b32 v19, v27, v17
	ds_bpermute_b32 v20, v27, v18
	s_waitcnt lgkmcnt(2)
	v_add_f64 v[9:10], v[11:12], v[9:10]
	s_waitcnt lgkmcnt(0)
	v_add_f64 v[11:12], v[17:18], v[19:20]
	ds_bpermute_b32 v17, v28, v9
	ds_bpermute_b32 v18, v28, v10
	ds_bpermute_b32 v19, v28, v11
	ds_bpermute_b32 v20, v28, v12
	s_and_saveexec_b32 s2, s1
	s_cbranch_execz .LBB23_7
; %bb.20:                               ;   in Loop: Header=BB23_8 Depth=1
	s_waitcnt lgkmcnt(0)
	v_add_f64 v[11:12], v[11:12], v[19:20]
	v_add_f64 v[17:18], v[9:10], v[17:18]
	v_mul_f64 v[9:10], v[11:12], -v[3:4]
	v_mul_f64 v[11:12], v[1:2], v[11:12]
	v_fma_f64 v[9:10], v[1:2], v[17:18], v[9:10]
	v_fma_f64 v[11:12], v[3:4], v[17:18], v[11:12]
	v_add_nc_u32_e32 v17, s25, v13
	v_ashrrev_i32_e32 v18, 31, v17
	s_and_saveexec_b32 s3, s21
	s_xor_b32 s3, exec_lo, s3
	s_cbranch_execz .LBB23_22
; %bb.21:                               ;   in Loop: Header=BB23_8 Depth=1
	v_lshlrev_b64 v[17:18], 4, v[17:18]
	v_add_co_u32 v17, vcc_lo, s8, v17
	v_add_co_ci_u32_e64 v18, null, s9, v18, vcc_lo
	global_store_dwordx4 v[17:18], v[9:12], off
                                        ; implicit-def: $vgpr17
                                        ; implicit-def: $vgpr9_vgpr10
.LBB23_22:                              ;   in Loop: Header=BB23_8 Depth=1
	s_andn2_saveexec_b32 s3, s3
	s_cbranch_execz .LBB23_7
; %bb.23:                               ;   in Loop: Header=BB23_8 Depth=1
	v_lshlrev_b64 v[17:18], 4, v[17:18]
	v_add_co_u32 v21, vcc_lo, s8, v17
	v_add_co_ci_u32_e64 v22, null, s9, v18, vcc_lo
	global_load_dwordx4 v[17:20], v[21:22], off
	s_waitcnt vmcnt(0)
	v_fma_f64 v[9:10], v[5:6], v[17:18], v[9:10]
	v_fma_f64 v[11:12], v[7:8], v[17:18], v[11:12]
	v_fma_f64 v[9:10], -v[7:8], v[19:20], v[9:10]
	v_fma_f64 v[11:12], v[5:6], v[19:20], v[11:12]
	global_store_dwordx4 v[21:22], v[9:12], off
	s_branch .LBB23_7
.LBB23_24:
	s_endpgm
	.section	.rodata,"a",@progbits
	.p2align	6, 0x0
	.amdhsa_kernel _ZN9rocsparseL22bsrxmvn_general_kernelILj1024ELj32E21rocsparse_complex_numIdEliS2_S2_S2_EEv20rocsparse_direction_NS_24const_host_device_scalarIT1_EET3_PKS7_PKT2_SC_S9_PKT4_S7_PKT5_S6_PT6_21rocsparse_index_base_b
		.amdhsa_group_segment_fixed_size 0
		.amdhsa_private_segment_fixed_size 0
		.amdhsa_kernarg_size 120
		.amdhsa_user_sgpr_count 6
		.amdhsa_user_sgpr_private_segment_buffer 1
		.amdhsa_user_sgpr_dispatch_ptr 0
		.amdhsa_user_sgpr_queue_ptr 0
		.amdhsa_user_sgpr_kernarg_segment_ptr 1
		.amdhsa_user_sgpr_dispatch_id 0
		.amdhsa_user_sgpr_flat_scratch_init 0
		.amdhsa_user_sgpr_private_segment_size 0
		.amdhsa_wavefront_size32 1
		.amdhsa_uses_dynamic_stack 0
		.amdhsa_system_sgpr_private_segment_wavefront_offset 0
		.amdhsa_system_sgpr_workgroup_id_x 1
		.amdhsa_system_sgpr_workgroup_id_y 0
		.amdhsa_system_sgpr_workgroup_id_z 0
		.amdhsa_system_sgpr_workgroup_info 0
		.amdhsa_system_vgpr_workitem_id 0
		.amdhsa_next_free_vgpr 40
		.amdhsa_next_free_sgpr 32
		.amdhsa_reserve_vcc 1
		.amdhsa_reserve_flat_scratch 0
		.amdhsa_float_round_mode_32 0
		.amdhsa_float_round_mode_16_64 0
		.amdhsa_float_denorm_mode_32 3
		.amdhsa_float_denorm_mode_16_64 3
		.amdhsa_dx10_clamp 1
		.amdhsa_ieee_mode 1
		.amdhsa_fp16_overflow 0
		.amdhsa_workgroup_processor_mode 1
		.amdhsa_memory_ordered 1
		.amdhsa_forward_progress 1
		.amdhsa_shared_vgpr_count 0
		.amdhsa_exception_fp_ieee_invalid_op 0
		.amdhsa_exception_fp_denorm_src 0
		.amdhsa_exception_fp_ieee_div_zero 0
		.amdhsa_exception_fp_ieee_overflow 0
		.amdhsa_exception_fp_ieee_underflow 0
		.amdhsa_exception_fp_ieee_inexact 0
		.amdhsa_exception_int_div_zero 0
	.end_amdhsa_kernel
	.section	.text._ZN9rocsparseL22bsrxmvn_general_kernelILj1024ELj32E21rocsparse_complex_numIdEliS2_S2_S2_EEv20rocsparse_direction_NS_24const_host_device_scalarIT1_EET3_PKS7_PKT2_SC_S9_PKT4_S7_PKT5_S6_PT6_21rocsparse_index_base_b,"axG",@progbits,_ZN9rocsparseL22bsrxmvn_general_kernelILj1024ELj32E21rocsparse_complex_numIdEliS2_S2_S2_EEv20rocsparse_direction_NS_24const_host_device_scalarIT1_EET3_PKS7_PKT2_SC_S9_PKT4_S7_PKT5_S6_PT6_21rocsparse_index_base_b,comdat
.Lfunc_end23:
	.size	_ZN9rocsparseL22bsrxmvn_general_kernelILj1024ELj32E21rocsparse_complex_numIdEliS2_S2_S2_EEv20rocsparse_direction_NS_24const_host_device_scalarIT1_EET3_PKS7_PKT2_SC_S9_PKT4_S7_PKT5_S6_PT6_21rocsparse_index_base_b, .Lfunc_end23-_ZN9rocsparseL22bsrxmvn_general_kernelILj1024ELj32E21rocsparse_complex_numIdEliS2_S2_S2_EEv20rocsparse_direction_NS_24const_host_device_scalarIT1_EET3_PKS7_PKT2_SC_S9_PKT4_S7_PKT5_S6_PT6_21rocsparse_index_base_b
                                        ; -- End function
	.set _ZN9rocsparseL22bsrxmvn_general_kernelILj1024ELj32E21rocsparse_complex_numIdEliS2_S2_S2_EEv20rocsparse_direction_NS_24const_host_device_scalarIT1_EET3_PKS7_PKT2_SC_S9_PKT4_S7_PKT5_S6_PT6_21rocsparse_index_base_b.num_vgpr, 40
	.set _ZN9rocsparseL22bsrxmvn_general_kernelILj1024ELj32E21rocsparse_complex_numIdEliS2_S2_S2_EEv20rocsparse_direction_NS_24const_host_device_scalarIT1_EET3_PKS7_PKT2_SC_S9_PKT4_S7_PKT5_S6_PT6_21rocsparse_index_base_b.num_agpr, 0
	.set _ZN9rocsparseL22bsrxmvn_general_kernelILj1024ELj32E21rocsparse_complex_numIdEliS2_S2_S2_EEv20rocsparse_direction_NS_24const_host_device_scalarIT1_EET3_PKS7_PKT2_SC_S9_PKT4_S7_PKT5_S6_PT6_21rocsparse_index_base_b.numbered_sgpr, 32
	.set _ZN9rocsparseL22bsrxmvn_general_kernelILj1024ELj32E21rocsparse_complex_numIdEliS2_S2_S2_EEv20rocsparse_direction_NS_24const_host_device_scalarIT1_EET3_PKS7_PKT2_SC_S9_PKT4_S7_PKT5_S6_PT6_21rocsparse_index_base_b.num_named_barrier, 0
	.set _ZN9rocsparseL22bsrxmvn_general_kernelILj1024ELj32E21rocsparse_complex_numIdEliS2_S2_S2_EEv20rocsparse_direction_NS_24const_host_device_scalarIT1_EET3_PKS7_PKT2_SC_S9_PKT4_S7_PKT5_S6_PT6_21rocsparse_index_base_b.private_seg_size, 0
	.set _ZN9rocsparseL22bsrxmvn_general_kernelILj1024ELj32E21rocsparse_complex_numIdEliS2_S2_S2_EEv20rocsparse_direction_NS_24const_host_device_scalarIT1_EET3_PKS7_PKT2_SC_S9_PKT4_S7_PKT5_S6_PT6_21rocsparse_index_base_b.uses_vcc, 1
	.set _ZN9rocsparseL22bsrxmvn_general_kernelILj1024ELj32E21rocsparse_complex_numIdEliS2_S2_S2_EEv20rocsparse_direction_NS_24const_host_device_scalarIT1_EET3_PKS7_PKT2_SC_S9_PKT4_S7_PKT5_S6_PT6_21rocsparse_index_base_b.uses_flat_scratch, 0
	.set _ZN9rocsparseL22bsrxmvn_general_kernelILj1024ELj32E21rocsparse_complex_numIdEliS2_S2_S2_EEv20rocsparse_direction_NS_24const_host_device_scalarIT1_EET3_PKS7_PKT2_SC_S9_PKT4_S7_PKT5_S6_PT6_21rocsparse_index_base_b.has_dyn_sized_stack, 0
	.set _ZN9rocsparseL22bsrxmvn_general_kernelILj1024ELj32E21rocsparse_complex_numIdEliS2_S2_S2_EEv20rocsparse_direction_NS_24const_host_device_scalarIT1_EET3_PKS7_PKT2_SC_S9_PKT4_S7_PKT5_S6_PT6_21rocsparse_index_base_b.has_recursion, 0
	.set _ZN9rocsparseL22bsrxmvn_general_kernelILj1024ELj32E21rocsparse_complex_numIdEliS2_S2_S2_EEv20rocsparse_direction_NS_24const_host_device_scalarIT1_EET3_PKS7_PKT2_SC_S9_PKT4_S7_PKT5_S6_PT6_21rocsparse_index_base_b.has_indirect_call, 0
	.section	.AMDGPU.csdata,"",@progbits
; Kernel info:
; codeLenInByte = 1548
; TotalNumSgprs: 34
; NumVgprs: 40
; ScratchSize: 0
; MemoryBound: 0
; FloatMode: 240
; IeeeMode: 1
; LDSByteSize: 0 bytes/workgroup (compile time only)
; SGPRBlocks: 0
; VGPRBlocks: 4
; NumSGPRsForWavesPerEU: 34
; NumVGPRsForWavesPerEU: 40
; Occupancy: 16
; WaveLimiterHint : 1
; COMPUTE_PGM_RSRC2:SCRATCH_EN: 0
; COMPUTE_PGM_RSRC2:USER_SGPR: 6
; COMPUTE_PGM_RSRC2:TRAP_HANDLER: 0
; COMPUTE_PGM_RSRC2:TGID_X_EN: 1
; COMPUTE_PGM_RSRC2:TGID_Y_EN: 0
; COMPUTE_PGM_RSRC2:TGID_Z_EN: 0
; COMPUTE_PGM_RSRC2:TIDIG_COMP_CNT: 0
	.section	.text._ZN9rocsparseL22bsrxmvn_general_kernelILj64ELj8EfllfffEEv20rocsparse_direction_NS_24const_host_device_scalarIT1_EET3_PKS5_PKT2_SA_S7_PKT4_S5_PKT5_S4_PT6_21rocsparse_index_base_b,"axG",@progbits,_ZN9rocsparseL22bsrxmvn_general_kernelILj64ELj8EfllfffEEv20rocsparse_direction_NS_24const_host_device_scalarIT1_EET3_PKS5_PKT2_SA_S7_PKT4_S5_PKT5_S4_PT6_21rocsparse_index_base_b,comdat
	.globl	_ZN9rocsparseL22bsrxmvn_general_kernelILj64ELj8EfllfffEEv20rocsparse_direction_NS_24const_host_device_scalarIT1_EET3_PKS5_PKT2_SA_S7_PKT4_S5_PKT5_S4_PT6_21rocsparse_index_base_b ; -- Begin function _ZN9rocsparseL22bsrxmvn_general_kernelILj64ELj8EfllfffEEv20rocsparse_direction_NS_24const_host_device_scalarIT1_EET3_PKS5_PKT2_SA_S7_PKT4_S5_PKT5_S4_PT6_21rocsparse_index_base_b
	.p2align	8
	.type	_ZN9rocsparseL22bsrxmvn_general_kernelILj64ELj8EfllfffEEv20rocsparse_direction_NS_24const_host_device_scalarIT1_EET3_PKS5_PKT2_SA_S7_PKT4_S5_PKT5_S4_PT6_21rocsparse_index_base_b,@function
_ZN9rocsparseL22bsrxmvn_general_kernelILj64ELj8EfllfffEEv20rocsparse_direction_NS_24const_host_device_scalarIT1_EET3_PKS5_PKT2_SA_S7_PKT4_S5_PKT5_S4_PT6_21rocsparse_index_base_b: ; @_ZN9rocsparseL22bsrxmvn_general_kernelILj64ELj8EfllfffEEv20rocsparse_direction_NS_24const_host_device_scalarIT1_EET3_PKS5_PKT2_SA_S7_PKT4_S5_PKT5_S4_PT6_21rocsparse_index_base_b
; %bb.0:
	s_clause 0x2
	s_load_dwordx2 s[16:17], s[4:5], 0x60
	s_load_dwordx2 s[18:19], s[4:5], 0x8
	;; [unrolled: 1-line block ×3, first 2 shown]
	s_waitcnt lgkmcnt(0)
	s_bitcmp1_b32 s17, 0
	s_cselect_b32 s0, -1, 0
	s_and_b32 vcc_lo, exec_lo, s0
	s_xor_b32 s0, s0, -1
	s_cbranch_vccnz .LBB24_2
; %bb.1:
	s_load_dword s18, s[18:19], 0x0
.LBB24_2:
	s_andn2_b32 vcc_lo, exec_lo, s0
	s_cbranch_vccnz .LBB24_4
; %bb.3:
	s_load_dword s20, s[20:21], 0x0
.LBB24_4:
	s_waitcnt lgkmcnt(0)
	v_cmp_neq_f32_e64 s0, s18, 0
	v_cmp_neq_f32_e64 s1, s20, 1.0
	s_mov_b32 s7, 0
	s_or_b32 s0, s0, s1
	s_andn2_b32 vcc_lo, exec_lo, s0
	s_cbranch_vccnz .LBB24_26
; %bb.5:
	s_load_dwordx2 s[0:1], s[4:5], 0x18
	s_waitcnt lgkmcnt(0)
	s_cmp_eq_u64 s[0:1], 0
	s_cbranch_scc1 .LBB24_7
; %bb.6:
	s_lshl_b64 s[2:3], s[6:7], 3
	s_add_u32 s0, s0, s2
	s_addc_u32 s1, s1, s3
	s_load_dwordx2 s[0:1], s[0:1], 0x0
	s_waitcnt lgkmcnt(0)
	s_sub_u32 s6, s0, s16
	s_subb_u32 s7, s1, 0
.LBB24_7:
	s_load_dwordx2 s[22:23], s[4:5], 0x40
	v_lshrrev_b32_e32 v1, 3, v0
	v_mov_b32_e32 v2, 0
	s_mov_b32 s0, exec_lo
	s_waitcnt lgkmcnt(0)
	v_cmpx_gt_i64_e64 s[22:23], v[1:2]
	s_cbranch_execz .LBB24_26
; %bb.8:
	s_load_dwordx8 s[8:15], s[4:5], 0x20
	s_lshl_b64 s[26:27], s[6:7], 3
	v_and_b32_e32 v3, 7, v0
	v_mbcnt_lo_u32_b32 v0, -1, 0
	s_load_dword s21, s[4:5], 0x0
	s_mul_i32 s31, s6, s23
	s_mul_hi_u32 s33, s6, s22
	s_mul_i32 s30, s6, s22
	v_xor_b32_e32 v5, 4, v0
	s_mul_i32 s34, s7, s22
	v_xor_b32_e32 v6, 2, v0
	v_xor_b32_e32 v7, 1, v0
	v_lshlrev_b32_e32 v8, 2, v3
	v_cmp_gt_i32_e32 vcc_lo, 32, v5
	v_mov_b32_e32 v4, v2
	s_mul_i32 s35, s22, s23
	s_mul_hi_u32 s36, s22, s22
	v_cmp_eq_f32_e64 s19, s20, 0
	v_cndmask_b32_e32 v9, v0, v5, vcc_lo
	v_cmp_gt_i32_e32 vcc_lo, 32, v6
	s_waitcnt lgkmcnt(0)
	s_add_u32 s28, s8, s26
	s_addc_u32 s29, s9, s27
	v_cmp_gt_u64_e64 s0, s[22:23], v[3:4]
	s_load_dwordx2 s[8:9], s[28:29], 0x0
	s_clause 0x1
	s_load_dwordx2 s[2:3], s[4:5], 0x58
	s_load_dwordx2 s[24:25], s[4:5], 0x48
	v_cndmask_b32_e32 v10, v0, v6, vcc_lo
	v_cmp_gt_i32_e32 vcc_lo, 32, v7
	s_mov_b32 s17, 0
	v_lshlrev_b32_e32 v17, 2, v10
	v_cndmask_b32_e32 v7, v0, v7, vcc_lo
	v_lshlrev_b32_e32 v0, 2, v9
	v_lshlrev_b32_e32 v18, 2, v7
	s_waitcnt lgkmcnt(0)
	s_sub_u32 s4, s8, s16
	s_subb_u32 s5, s9, 0
	s_add_u32 s1, s28, 8
	s_addc_u32 s6, s29, 0
	s_add_u32 s26, s10, s26
	s_addc_u32 s7, s11, s27
	s_cmp_eq_u64 s[10:11], 0
	v_mad_u64_u32 v[5:6], null, s22, s4, v[1:2]
	s_cselect_b32 s7, s6, s7
	s_cselect_b32 s6, s1, s26
	v_cmp_eq_u32_e64 s1, 7, v3
	s_load_dwordx2 s[10:11], s[6:7], 0x0
	s_mul_i32 s6, s23, s4
	s_mul_i32 s7, s22, s5
	v_mul_lo_u32 v9, s23, v5
	v_add3_u32 v7, s7, s6, v6
	v_mad_u64_u32 v[5:6], null, s22, v5, 0
	s_mul_i32 s29, s22, s22
	v_mul_lo_u32 v10, s22, v7
	v_add_co_u32 v7, s24, s24, v8
	v_add_co_ci_u32_e64 v8, null, s25, 0, s24
	v_add3_u32 v6, v6, v10, v9
	s_waitcnt lgkmcnt(0)
	s_sub_u32 s6, s10, s16
	s_subb_u32 s7, s11, 0
	s_cmp_lg_u32 s21, 0
	s_cselect_b32 s21, -1, 0
	s_add_i32 s26, s33, s31
	s_add_i32 s31, s26, s34
	v_cmp_lt_i64_e64 s26, s[8:9], s[10:11]
	s_lshl_b64 s[24:25], s[30:31], 2
	s_add_u32 s27, s2, s24
	s_addc_u32 s3, s3, s25
	s_add_i32 s2, s36, s35
	s_lshl_b64 s[8:9], s[22:23], 2
	s_lshl_b64 s[10:11], s[22:23], 3
	s_add_i32 s28, s2, s35
	s_branch .LBB24_10
.LBB24_9:                               ;   in Loop: Header=BB24_10 Depth=1
	s_or_b32 exec_lo, exec_lo, s2
	v_add_co_u32 v1, vcc_lo, v1, 8
	v_add_co_ci_u32_e64 v2, null, 0, v2, vcc_lo
	v_add_co_u32 v5, s2, v5, s10
	v_add_co_ci_u32_e64 v6, null, s11, v6, s2
	v_cmp_le_i64_e32 vcc_lo, s[22:23], v[1:2]
	s_or_b32 s17, vcc_lo, s17
	s_andn2_b32 exec_lo, exec_lo, s17
	s_cbranch_execz .LBB24_26
.LBB24_10:                              ; =>This Loop Header: Depth=1
                                        ;     Child Loop BB24_14 Depth 2
                                        ;       Child Loop BB24_17 Depth 3
	v_mov_b32_e32 v19, 0
	s_andn2_b32 vcc_lo, exec_lo, s26
	s_cbranch_vccnz .LBB24_21
; %bb.11:                               ;   in Loop: Header=BB24_10 Depth=1
	s_waitcnt lgkmcnt(0)
	v_mov_b32_e32 v10, v6
	v_mov_b32_e32 v19, 0
	;; [unrolled: 1-line block ×3, first 2 shown]
	s_mov_b64 s[24:25], s[4:5]
	s_branch .LBB24_14
.LBB24_12:                              ;   in Loop: Header=BB24_14 Depth=2
	s_or_b32 exec_lo, exec_lo, s33
.LBB24_13:                              ;   in Loop: Header=BB24_14 Depth=2
	s_or_b32 exec_lo, exec_lo, s30
	s_add_u32 s24, s24, 1
	s_addc_u32 s25, s25, 0
	v_add_co_u32 v9, vcc_lo, v9, s29
	v_cmp_ge_i64_e64 s2, s[24:25], s[6:7]
	v_add_co_ci_u32_e64 v10, null, s28, v10, vcc_lo
	s_and_b32 vcc_lo, exec_lo, s2
	s_cbranch_vccnz .LBB24_21
.LBB24_14:                              ;   Parent Loop BB24_10 Depth=1
                                        ; =>  This Loop Header: Depth=2
                                        ;       Child Loop BB24_17 Depth 3
	s_and_saveexec_b32 s30, s0
	s_cbranch_execz .LBB24_13
; %bb.15:                               ;   in Loop: Header=BB24_14 Depth=2
	s_lshl_b64 s[34:35], s[24:25], 3
	s_mul_i32 s31, s24, s23
	s_add_u32 s34, s12, s34
	s_addc_u32 s35, s13, s35
	s_mul_hi_u32 s33, s24, s22
	s_load_dwordx2 s[34:35], s[34:35], 0x0
	v_mov_b32_e32 v14, v4
	v_mov_b32_e32 v13, v3
	s_waitcnt lgkmcnt(0)
	s_sub_u32 s2, s34, s16
	s_subb_u32 s35, s35, 0
	v_mad_u64_u32 v[11:12], null, s8, s2, v[7:8]
	s_mul_i32 s2, s9, s2
	s_mul_i32 s35, s8, s35
	s_mul_i32 s34, s25, s22
	s_add_i32 s31, s33, s31
	s_mov_b32 s33, 0
	s_add_i32 s31, s31, s34
	v_add3_u32 v12, s35, s2, v12
	s_mul_i32 s34, s24, s22
	s_branch .LBB24_17
.LBB24_16:                              ;   in Loop: Header=BB24_17 Depth=3
	v_lshlrev_b64 v[15:16], 2, v[15:16]
	v_add_co_u32 v15, vcc_lo, s14, v15
	v_add_co_ci_u32_e64 v16, null, s15, v16, vcc_lo
	v_add_co_u32 v13, vcc_lo, v13, 8
	global_load_dword v20, v[11:12], off
	global_load_dword v15, v[15:16], off
	v_add_co_ci_u32_e64 v14, null, 0, v14, vcc_lo
	v_add_co_u32 v11, s2, v11, 32
	v_add_co_ci_u32_e64 v12, null, 0, v12, s2
	v_cmp_le_i64_e32 vcc_lo, s[22:23], v[13:14]
	s_or_b32 s33, vcc_lo, s33
	s_waitcnt vmcnt(0)
	v_fmac_f32_e32 v19, v15, v20
	s_andn2_b32 exec_lo, exec_lo, s33
	s_cbranch_execz .LBB24_12
.LBB24_17:                              ;   Parent Loop BB24_10 Depth=1
                                        ;     Parent Loop BB24_14 Depth=2
                                        ; =>    This Inner Loop Header: Depth=3
	s_and_b32 vcc_lo, exec_lo, s21
	s_cbranch_vccz .LBB24_19
; %bb.18:                               ;   in Loop: Header=BB24_17 Depth=3
	v_add_co_u32 v15, vcc_lo, v13, s34
	v_add_co_ci_u32_e64 v16, null, s31, v14, vcc_lo
	v_mul_lo_u32 v20, v15, s23
	v_mul_lo_u32 v21, v16, s22
	v_mad_u64_u32 v[15:16], null, v15, s22, v[1:2]
	v_add3_u32 v16, v21, v16, v20
	s_cbranch_execnz .LBB24_16
	s_branch .LBB24_20
.LBB24_19:                              ;   in Loop: Header=BB24_17 Depth=3
                                        ; implicit-def: $vgpr15_vgpr16
.LBB24_20:                              ;   in Loop: Header=BB24_17 Depth=3
	v_add_co_u32 v15, vcc_lo, v9, v13
	v_add_co_ci_u32_e64 v16, null, v10, v14, vcc_lo
	s_branch .LBB24_16
.LBB24_21:                              ;   in Loop: Header=BB24_10 Depth=1
	ds_bpermute_b32 v9, v0, v19
	s_waitcnt lgkmcnt(0)
	v_add_f32_e32 v9, v19, v9
	ds_bpermute_b32 v10, v17, v9
	s_waitcnt lgkmcnt(0)
	v_add_f32_e32 v9, v9, v10
	ds_bpermute_b32 v10, v18, v9
	s_and_saveexec_b32 s2, s1
	s_cbranch_execz .LBB24_9
; %bb.22:                               ;   in Loop: Header=BB24_10 Depth=1
	s_waitcnt lgkmcnt(0)
	v_add_f32_e32 v11, v9, v10
	v_lshlrev_b64 v[9:10], 2, v[1:2]
	s_and_b32 vcc_lo, exec_lo, s19
	v_mul_f32_e32 v11, s18, v11
	s_cbranch_vccz .LBB24_24
; %bb.23:                               ;   in Loop: Header=BB24_10 Depth=1
	v_add_co_u32 v12, vcc_lo, s27, v9
	v_add_co_ci_u32_e64 v13, null, s3, v10, vcc_lo
	global_store_dword v[12:13], v11, off
	s_cbranch_execnz .LBB24_9
	s_branch .LBB24_25
.LBB24_24:                              ;   in Loop: Header=BB24_10 Depth=1
.LBB24_25:                              ;   in Loop: Header=BB24_10 Depth=1
	v_add_co_u32 v9, vcc_lo, s27, v9
	v_add_co_ci_u32_e64 v10, null, s3, v10, vcc_lo
	global_load_dword v12, v[9:10], off
	s_waitcnt vmcnt(0)
	v_fmac_f32_e32 v11, s20, v12
	global_store_dword v[9:10], v11, off
	s_branch .LBB24_9
.LBB24_26:
	s_endpgm
	.section	.rodata,"a",@progbits
	.p2align	6, 0x0
	.amdhsa_kernel _ZN9rocsparseL22bsrxmvn_general_kernelILj64ELj8EfllfffEEv20rocsparse_direction_NS_24const_host_device_scalarIT1_EET3_PKS5_PKT2_SA_S7_PKT4_S5_PKT5_S4_PT6_21rocsparse_index_base_b
		.amdhsa_group_segment_fixed_size 0
		.amdhsa_private_segment_fixed_size 0
		.amdhsa_kernarg_size 104
		.amdhsa_user_sgpr_count 6
		.amdhsa_user_sgpr_private_segment_buffer 1
		.amdhsa_user_sgpr_dispatch_ptr 0
		.amdhsa_user_sgpr_queue_ptr 0
		.amdhsa_user_sgpr_kernarg_segment_ptr 1
		.amdhsa_user_sgpr_dispatch_id 0
		.amdhsa_user_sgpr_flat_scratch_init 0
		.amdhsa_user_sgpr_private_segment_size 0
		.amdhsa_wavefront_size32 1
		.amdhsa_uses_dynamic_stack 0
		.amdhsa_system_sgpr_private_segment_wavefront_offset 0
		.amdhsa_system_sgpr_workgroup_id_x 1
		.amdhsa_system_sgpr_workgroup_id_y 0
		.amdhsa_system_sgpr_workgroup_id_z 0
		.amdhsa_system_sgpr_workgroup_info 0
		.amdhsa_system_vgpr_workitem_id 0
		.amdhsa_next_free_vgpr 22
		.amdhsa_next_free_sgpr 37
		.amdhsa_reserve_vcc 1
		.amdhsa_reserve_flat_scratch 0
		.amdhsa_float_round_mode_32 0
		.amdhsa_float_round_mode_16_64 0
		.amdhsa_float_denorm_mode_32 3
		.amdhsa_float_denorm_mode_16_64 3
		.amdhsa_dx10_clamp 1
		.amdhsa_ieee_mode 1
		.amdhsa_fp16_overflow 0
		.amdhsa_workgroup_processor_mode 1
		.amdhsa_memory_ordered 1
		.amdhsa_forward_progress 1
		.amdhsa_shared_vgpr_count 0
		.amdhsa_exception_fp_ieee_invalid_op 0
		.amdhsa_exception_fp_denorm_src 0
		.amdhsa_exception_fp_ieee_div_zero 0
		.amdhsa_exception_fp_ieee_overflow 0
		.amdhsa_exception_fp_ieee_underflow 0
		.amdhsa_exception_fp_ieee_inexact 0
		.amdhsa_exception_int_div_zero 0
	.end_amdhsa_kernel
	.section	.text._ZN9rocsparseL22bsrxmvn_general_kernelILj64ELj8EfllfffEEv20rocsparse_direction_NS_24const_host_device_scalarIT1_EET3_PKS5_PKT2_SA_S7_PKT4_S5_PKT5_S4_PT6_21rocsparse_index_base_b,"axG",@progbits,_ZN9rocsparseL22bsrxmvn_general_kernelILj64ELj8EfllfffEEv20rocsparse_direction_NS_24const_host_device_scalarIT1_EET3_PKS5_PKT2_SA_S7_PKT4_S5_PKT5_S4_PT6_21rocsparse_index_base_b,comdat
.Lfunc_end24:
	.size	_ZN9rocsparseL22bsrxmvn_general_kernelILj64ELj8EfllfffEEv20rocsparse_direction_NS_24const_host_device_scalarIT1_EET3_PKS5_PKT2_SA_S7_PKT4_S5_PKT5_S4_PT6_21rocsparse_index_base_b, .Lfunc_end24-_ZN9rocsparseL22bsrxmvn_general_kernelILj64ELj8EfllfffEEv20rocsparse_direction_NS_24const_host_device_scalarIT1_EET3_PKS5_PKT2_SA_S7_PKT4_S5_PKT5_S4_PT6_21rocsparse_index_base_b
                                        ; -- End function
	.set _ZN9rocsparseL22bsrxmvn_general_kernelILj64ELj8EfllfffEEv20rocsparse_direction_NS_24const_host_device_scalarIT1_EET3_PKS5_PKT2_SA_S7_PKT4_S5_PKT5_S4_PT6_21rocsparse_index_base_b.num_vgpr, 22
	.set _ZN9rocsparseL22bsrxmvn_general_kernelILj64ELj8EfllfffEEv20rocsparse_direction_NS_24const_host_device_scalarIT1_EET3_PKS5_PKT2_SA_S7_PKT4_S5_PKT5_S4_PT6_21rocsparse_index_base_b.num_agpr, 0
	.set _ZN9rocsparseL22bsrxmvn_general_kernelILj64ELj8EfllfffEEv20rocsparse_direction_NS_24const_host_device_scalarIT1_EET3_PKS5_PKT2_SA_S7_PKT4_S5_PKT5_S4_PT6_21rocsparse_index_base_b.numbered_sgpr, 37
	.set _ZN9rocsparseL22bsrxmvn_general_kernelILj64ELj8EfllfffEEv20rocsparse_direction_NS_24const_host_device_scalarIT1_EET3_PKS5_PKT2_SA_S7_PKT4_S5_PKT5_S4_PT6_21rocsparse_index_base_b.num_named_barrier, 0
	.set _ZN9rocsparseL22bsrxmvn_general_kernelILj64ELj8EfllfffEEv20rocsparse_direction_NS_24const_host_device_scalarIT1_EET3_PKS5_PKT2_SA_S7_PKT4_S5_PKT5_S4_PT6_21rocsparse_index_base_b.private_seg_size, 0
	.set _ZN9rocsparseL22bsrxmvn_general_kernelILj64ELj8EfllfffEEv20rocsparse_direction_NS_24const_host_device_scalarIT1_EET3_PKS5_PKT2_SA_S7_PKT4_S5_PKT5_S4_PT6_21rocsparse_index_base_b.uses_vcc, 1
	.set _ZN9rocsparseL22bsrxmvn_general_kernelILj64ELj8EfllfffEEv20rocsparse_direction_NS_24const_host_device_scalarIT1_EET3_PKS5_PKT2_SA_S7_PKT4_S5_PKT5_S4_PT6_21rocsparse_index_base_b.uses_flat_scratch, 0
	.set _ZN9rocsparseL22bsrxmvn_general_kernelILj64ELj8EfllfffEEv20rocsparse_direction_NS_24const_host_device_scalarIT1_EET3_PKS5_PKT2_SA_S7_PKT4_S5_PKT5_S4_PT6_21rocsparse_index_base_b.has_dyn_sized_stack, 0
	.set _ZN9rocsparseL22bsrxmvn_general_kernelILj64ELj8EfllfffEEv20rocsparse_direction_NS_24const_host_device_scalarIT1_EET3_PKS5_PKT2_SA_S7_PKT4_S5_PKT5_S4_PT6_21rocsparse_index_base_b.has_recursion, 0
	.set _ZN9rocsparseL22bsrxmvn_general_kernelILj64ELj8EfllfffEEv20rocsparse_direction_NS_24const_host_device_scalarIT1_EET3_PKS5_PKT2_SA_S7_PKT4_S5_PKT5_S4_PT6_21rocsparse_index_base_b.has_indirect_call, 0
	.section	.AMDGPU.csdata,"",@progbits
; Kernel info:
; codeLenInByte = 1148
; TotalNumSgprs: 39
; NumVgprs: 22
; ScratchSize: 0
; MemoryBound: 0
; FloatMode: 240
; IeeeMode: 1
; LDSByteSize: 0 bytes/workgroup (compile time only)
; SGPRBlocks: 0
; VGPRBlocks: 2
; NumSGPRsForWavesPerEU: 39
; NumVGPRsForWavesPerEU: 22
; Occupancy: 16
; WaveLimiterHint : 0
; COMPUTE_PGM_RSRC2:SCRATCH_EN: 0
; COMPUTE_PGM_RSRC2:USER_SGPR: 6
; COMPUTE_PGM_RSRC2:TRAP_HANDLER: 0
; COMPUTE_PGM_RSRC2:TGID_X_EN: 1
; COMPUTE_PGM_RSRC2:TGID_Y_EN: 0
; COMPUTE_PGM_RSRC2:TGID_Z_EN: 0
; COMPUTE_PGM_RSRC2:TIDIG_COMP_CNT: 0
	.section	.text._ZN9rocsparseL22bsrxmvn_general_kernelILj256ELj16EfllfffEEv20rocsparse_direction_NS_24const_host_device_scalarIT1_EET3_PKS5_PKT2_SA_S7_PKT4_S5_PKT5_S4_PT6_21rocsparse_index_base_b,"axG",@progbits,_ZN9rocsparseL22bsrxmvn_general_kernelILj256ELj16EfllfffEEv20rocsparse_direction_NS_24const_host_device_scalarIT1_EET3_PKS5_PKT2_SA_S7_PKT4_S5_PKT5_S4_PT6_21rocsparse_index_base_b,comdat
	.globl	_ZN9rocsparseL22bsrxmvn_general_kernelILj256ELj16EfllfffEEv20rocsparse_direction_NS_24const_host_device_scalarIT1_EET3_PKS5_PKT2_SA_S7_PKT4_S5_PKT5_S4_PT6_21rocsparse_index_base_b ; -- Begin function _ZN9rocsparseL22bsrxmvn_general_kernelILj256ELj16EfllfffEEv20rocsparse_direction_NS_24const_host_device_scalarIT1_EET3_PKS5_PKT2_SA_S7_PKT4_S5_PKT5_S4_PT6_21rocsparse_index_base_b
	.p2align	8
	.type	_ZN9rocsparseL22bsrxmvn_general_kernelILj256ELj16EfllfffEEv20rocsparse_direction_NS_24const_host_device_scalarIT1_EET3_PKS5_PKT2_SA_S7_PKT4_S5_PKT5_S4_PT6_21rocsparse_index_base_b,@function
_ZN9rocsparseL22bsrxmvn_general_kernelILj256ELj16EfllfffEEv20rocsparse_direction_NS_24const_host_device_scalarIT1_EET3_PKS5_PKT2_SA_S7_PKT4_S5_PKT5_S4_PT6_21rocsparse_index_base_b: ; @_ZN9rocsparseL22bsrxmvn_general_kernelILj256ELj16EfllfffEEv20rocsparse_direction_NS_24const_host_device_scalarIT1_EET3_PKS5_PKT2_SA_S7_PKT4_S5_PKT5_S4_PT6_21rocsparse_index_base_b
; %bb.0:
	s_clause 0x2
	s_load_dwordx2 s[16:17], s[4:5], 0x60
	s_load_dwordx2 s[18:19], s[4:5], 0x8
	;; [unrolled: 1-line block ×3, first 2 shown]
	s_waitcnt lgkmcnt(0)
	s_bitcmp1_b32 s17, 0
	s_cselect_b32 s0, -1, 0
	s_and_b32 vcc_lo, exec_lo, s0
	s_xor_b32 s0, s0, -1
	s_cbranch_vccnz .LBB25_2
; %bb.1:
	s_load_dword s18, s[18:19], 0x0
.LBB25_2:
	s_andn2_b32 vcc_lo, exec_lo, s0
	s_cbranch_vccnz .LBB25_4
; %bb.3:
	s_load_dword s20, s[20:21], 0x0
.LBB25_4:
	s_waitcnt lgkmcnt(0)
	v_cmp_neq_f32_e64 s0, s18, 0
	v_cmp_neq_f32_e64 s1, s20, 1.0
	s_mov_b32 s7, 0
	s_or_b32 s0, s0, s1
	s_andn2_b32 vcc_lo, exec_lo, s0
	s_cbranch_vccnz .LBB25_26
; %bb.5:
	s_load_dwordx2 s[0:1], s[4:5], 0x18
	s_waitcnt lgkmcnt(0)
	s_cmp_eq_u64 s[0:1], 0
	s_cbranch_scc1 .LBB25_7
; %bb.6:
	s_lshl_b64 s[2:3], s[6:7], 3
	s_add_u32 s0, s0, s2
	s_addc_u32 s1, s1, s3
	s_load_dwordx2 s[0:1], s[0:1], 0x0
	s_waitcnt lgkmcnt(0)
	s_sub_u32 s6, s0, s16
	s_subb_u32 s7, s1, 0
.LBB25_7:
	s_load_dwordx2 s[22:23], s[4:5], 0x40
	v_lshrrev_b32_e32 v1, 4, v0
	v_mov_b32_e32 v2, 0
	s_mov_b32 s0, exec_lo
	s_waitcnt lgkmcnt(0)
	v_cmpx_gt_i64_e64 s[22:23], v[1:2]
	s_cbranch_execz .LBB25_26
; %bb.8:
	s_load_dwordx8 s[8:15], s[4:5], 0x20
	s_lshl_b64 s[26:27], s[6:7], 3
	v_and_b32_e32 v3, 15, v0
	v_mbcnt_lo_u32_b32 v0, -1, 0
	s_load_dword s21, s[4:5], 0x0
	s_mul_i32 s31, s6, s23
	s_mul_hi_u32 s33, s6, s22
	s_mul_i32 s30, s6, s22
	v_xor_b32_e32 v5, 8, v0
	s_mul_i32 s34, s7, s22
	v_xor_b32_e32 v6, 4, v0
	v_xor_b32_e32 v7, 2, v0
	;; [unrolled: 1-line block ×3, first 2 shown]
	v_cmp_gt_i32_e32 vcc_lo, 32, v5
	v_lshlrev_b32_e32 v9, 2, v3
	v_mov_b32_e32 v4, v2
	s_mul_i32 s35, s22, s23
	s_mul_hi_u32 s36, s22, s22
	v_cndmask_b32_e32 v10, v0, v5, vcc_lo
	v_cmp_gt_i32_e32 vcc_lo, 32, v6
	s_waitcnt lgkmcnt(0)
	s_add_u32 s28, s8, s26
	s_addc_u32 s29, s9, s27
	v_cmp_gt_u64_e64 s0, s[22:23], v[3:4]
	s_load_dwordx2 s[8:9], s[28:29], 0x0
	s_clause 0x1
	s_load_dwordx2 s[2:3], s[4:5], 0x58
	s_load_dwordx2 s[24:25], s[4:5], 0x48
	v_cndmask_b32_e32 v11, v0, v6, vcc_lo
	v_cmp_gt_i32_e32 vcc_lo, 32, v7
	v_cmp_eq_f32_e64 s19, s20, 0
	v_cmp_eq_u32_e64 s1, 15, v3
	s_mov_b32 s17, 0
	v_lshlrev_b32_e32 v17, 2, v11
	v_cndmask_b32_e32 v7, v0, v7, vcc_lo
	v_cmp_gt_i32_e32 vcc_lo, 32, v8
	v_lshlrev_b32_e32 v18, 2, v7
	v_cndmask_b32_e32 v8, v0, v8, vcc_lo
	v_lshlrev_b32_e32 v0, 2, v10
	v_lshlrev_b32_e32 v19, 2, v8
	s_waitcnt lgkmcnt(0)
	s_sub_u32 s4, s8, s16
	s_subb_u32 s5, s9, 0
	s_add_u32 s6, s28, 8
	s_addc_u32 s7, s29, 0
	s_add_u32 s26, s10, s26
	s_addc_u32 s27, s11, s27
	s_cmp_eq_u64 s[10:11], 0
	v_mad_u64_u32 v[5:6], null, s22, s4, v[1:2]
	s_cselect_b32 s7, s7, s27
	s_cselect_b32 s6, s6, s26
	s_mul_i32 s29, s22, s22
	s_load_dwordx2 s[10:11], s[6:7], 0x0
	s_mul_i32 s6, s23, s4
	s_mul_i32 s7, s22, s5
	v_mul_lo_u32 v10, s23, v5
	v_add3_u32 v7, s7, s6, v6
	v_mad_u64_u32 v[5:6], null, s22, v5, 0
	v_mul_lo_u32 v11, s22, v7
	v_add_co_u32 v7, s24, s24, v9
	v_add_co_ci_u32_e64 v8, null, s25, 0, s24
	v_add3_u32 v6, v6, v11, v10
	s_waitcnt lgkmcnt(0)
	s_sub_u32 s6, s10, s16
	s_subb_u32 s7, s11, 0
	s_cmp_lg_u32 s21, 0
	s_cselect_b32 s21, -1, 0
	s_add_i32 s26, s33, s31
	s_add_i32 s31, s26, s34
	v_cmp_lt_i64_e64 s26, s[8:9], s[10:11]
	s_lshl_b64 s[24:25], s[30:31], 2
	s_add_u32 s27, s2, s24
	s_addc_u32 s3, s3, s25
	s_add_i32 s2, s36, s35
	s_lshl_b64 s[8:9], s[22:23], 2
	s_lshl_b64 s[10:11], s[22:23], 4
	s_add_i32 s28, s2, s35
	s_branch .LBB25_10
.LBB25_9:                               ;   in Loop: Header=BB25_10 Depth=1
	s_or_b32 exec_lo, exec_lo, s2
	v_add_co_u32 v1, vcc_lo, v1, 16
	v_add_co_ci_u32_e64 v2, null, 0, v2, vcc_lo
	v_add_co_u32 v5, s2, v5, s10
	v_add_co_ci_u32_e64 v6, null, s11, v6, s2
	v_cmp_le_i64_e32 vcc_lo, s[22:23], v[1:2]
	s_or_b32 s17, vcc_lo, s17
	s_andn2_b32 exec_lo, exec_lo, s17
	s_cbranch_execz .LBB25_26
.LBB25_10:                              ; =>This Loop Header: Depth=1
                                        ;     Child Loop BB25_14 Depth 2
                                        ;       Child Loop BB25_17 Depth 3
	v_mov_b32_e32 v20, 0
	s_andn2_b32 vcc_lo, exec_lo, s26
	s_cbranch_vccnz .LBB25_21
; %bb.11:                               ;   in Loop: Header=BB25_10 Depth=1
	s_waitcnt lgkmcnt(0)
	v_mov_b32_e32 v10, v6
	v_mov_b32_e32 v20, 0
	;; [unrolled: 1-line block ×3, first 2 shown]
	s_mov_b64 s[24:25], s[4:5]
	s_branch .LBB25_14
.LBB25_12:                              ;   in Loop: Header=BB25_14 Depth=2
	s_or_b32 exec_lo, exec_lo, s33
.LBB25_13:                              ;   in Loop: Header=BB25_14 Depth=2
	s_or_b32 exec_lo, exec_lo, s30
	s_add_u32 s24, s24, 1
	s_addc_u32 s25, s25, 0
	v_add_co_u32 v9, vcc_lo, v9, s29
	v_cmp_ge_i64_e64 s2, s[24:25], s[6:7]
	v_add_co_ci_u32_e64 v10, null, s28, v10, vcc_lo
	s_and_b32 vcc_lo, exec_lo, s2
	s_cbranch_vccnz .LBB25_21
.LBB25_14:                              ;   Parent Loop BB25_10 Depth=1
                                        ; =>  This Loop Header: Depth=2
                                        ;       Child Loop BB25_17 Depth 3
	s_and_saveexec_b32 s30, s0
	s_cbranch_execz .LBB25_13
; %bb.15:                               ;   in Loop: Header=BB25_14 Depth=2
	s_lshl_b64 s[34:35], s[24:25], 3
	s_mul_i32 s31, s24, s23
	s_add_u32 s34, s12, s34
	s_addc_u32 s35, s13, s35
	s_mul_hi_u32 s33, s24, s22
	s_load_dwordx2 s[34:35], s[34:35], 0x0
	v_mov_b32_e32 v14, v4
	v_mov_b32_e32 v13, v3
	s_waitcnt lgkmcnt(0)
	s_sub_u32 s2, s34, s16
	s_subb_u32 s35, s35, 0
	v_mad_u64_u32 v[11:12], null, s8, s2, v[7:8]
	s_mul_i32 s2, s9, s2
	s_mul_i32 s35, s8, s35
	;; [unrolled: 1-line block ×3, first 2 shown]
	s_add_i32 s31, s33, s31
	s_mov_b32 s33, 0
	s_add_i32 s31, s31, s34
	v_add3_u32 v12, s35, s2, v12
	s_mul_i32 s34, s24, s22
	s_branch .LBB25_17
.LBB25_16:                              ;   in Loop: Header=BB25_17 Depth=3
	v_lshlrev_b64 v[15:16], 2, v[15:16]
	v_add_co_u32 v15, vcc_lo, s14, v15
	v_add_co_ci_u32_e64 v16, null, s15, v16, vcc_lo
	v_add_co_u32 v13, vcc_lo, v13, 16
	global_load_dword v21, v[11:12], off
	global_load_dword v15, v[15:16], off
	v_add_co_ci_u32_e64 v14, null, 0, v14, vcc_lo
	v_add_co_u32 v11, s2, v11, 64
	v_add_co_ci_u32_e64 v12, null, 0, v12, s2
	v_cmp_le_i64_e32 vcc_lo, s[22:23], v[13:14]
	s_or_b32 s33, vcc_lo, s33
	s_waitcnt vmcnt(0)
	v_fmac_f32_e32 v20, v15, v21
	s_andn2_b32 exec_lo, exec_lo, s33
	s_cbranch_execz .LBB25_12
.LBB25_17:                              ;   Parent Loop BB25_10 Depth=1
                                        ;     Parent Loop BB25_14 Depth=2
                                        ; =>    This Inner Loop Header: Depth=3
	s_and_b32 vcc_lo, exec_lo, s21
	s_cbranch_vccz .LBB25_19
; %bb.18:                               ;   in Loop: Header=BB25_17 Depth=3
	v_add_co_u32 v15, vcc_lo, v13, s34
	v_add_co_ci_u32_e64 v16, null, s31, v14, vcc_lo
	v_mul_lo_u32 v21, v15, s23
	v_mul_lo_u32 v22, v16, s22
	v_mad_u64_u32 v[15:16], null, v15, s22, v[1:2]
	v_add3_u32 v16, v22, v16, v21
	s_cbranch_execnz .LBB25_16
	s_branch .LBB25_20
.LBB25_19:                              ;   in Loop: Header=BB25_17 Depth=3
                                        ; implicit-def: $vgpr15_vgpr16
.LBB25_20:                              ;   in Loop: Header=BB25_17 Depth=3
	v_add_co_u32 v15, vcc_lo, v9, v13
	v_add_co_ci_u32_e64 v16, null, v10, v14, vcc_lo
	s_branch .LBB25_16
.LBB25_21:                              ;   in Loop: Header=BB25_10 Depth=1
	ds_bpermute_b32 v9, v0, v20
	s_waitcnt lgkmcnt(0)
	v_add_f32_e32 v9, v20, v9
	ds_bpermute_b32 v10, v17, v9
	s_waitcnt lgkmcnt(0)
	v_add_f32_e32 v9, v9, v10
	;; [unrolled: 3-line block ×3, first 2 shown]
	ds_bpermute_b32 v10, v19, v9
	s_and_saveexec_b32 s2, s1
	s_cbranch_execz .LBB25_9
; %bb.22:                               ;   in Loop: Header=BB25_10 Depth=1
	s_waitcnt lgkmcnt(0)
	v_add_f32_e32 v11, v9, v10
	v_lshlrev_b64 v[9:10], 2, v[1:2]
	s_and_b32 vcc_lo, exec_lo, s19
	v_mul_f32_e32 v11, s18, v11
	s_cbranch_vccz .LBB25_24
; %bb.23:                               ;   in Loop: Header=BB25_10 Depth=1
	v_add_co_u32 v12, vcc_lo, s27, v9
	v_add_co_ci_u32_e64 v13, null, s3, v10, vcc_lo
	global_store_dword v[12:13], v11, off
	s_cbranch_execnz .LBB25_9
	s_branch .LBB25_25
.LBB25_24:                              ;   in Loop: Header=BB25_10 Depth=1
.LBB25_25:                              ;   in Loop: Header=BB25_10 Depth=1
	v_add_co_u32 v9, vcc_lo, s27, v9
	v_add_co_ci_u32_e64 v10, null, s3, v10, vcc_lo
	global_load_dword v12, v[9:10], off
	s_waitcnt vmcnt(0)
	v_fmac_f32_e32 v11, s20, v12
	global_store_dword v[9:10], v11, off
	s_branch .LBB25_9
.LBB25_26:
	s_endpgm
	.section	.rodata,"a",@progbits
	.p2align	6, 0x0
	.amdhsa_kernel _ZN9rocsparseL22bsrxmvn_general_kernelILj256ELj16EfllfffEEv20rocsparse_direction_NS_24const_host_device_scalarIT1_EET3_PKS5_PKT2_SA_S7_PKT4_S5_PKT5_S4_PT6_21rocsparse_index_base_b
		.amdhsa_group_segment_fixed_size 0
		.amdhsa_private_segment_fixed_size 0
		.amdhsa_kernarg_size 104
		.amdhsa_user_sgpr_count 6
		.amdhsa_user_sgpr_private_segment_buffer 1
		.amdhsa_user_sgpr_dispatch_ptr 0
		.amdhsa_user_sgpr_queue_ptr 0
		.amdhsa_user_sgpr_kernarg_segment_ptr 1
		.amdhsa_user_sgpr_dispatch_id 0
		.amdhsa_user_sgpr_flat_scratch_init 0
		.amdhsa_user_sgpr_private_segment_size 0
		.amdhsa_wavefront_size32 1
		.amdhsa_uses_dynamic_stack 0
		.amdhsa_system_sgpr_private_segment_wavefront_offset 0
		.amdhsa_system_sgpr_workgroup_id_x 1
		.amdhsa_system_sgpr_workgroup_id_y 0
		.amdhsa_system_sgpr_workgroup_id_z 0
		.amdhsa_system_sgpr_workgroup_info 0
		.amdhsa_system_vgpr_workitem_id 0
		.amdhsa_next_free_vgpr 23
		.amdhsa_next_free_sgpr 37
		.amdhsa_reserve_vcc 1
		.amdhsa_reserve_flat_scratch 0
		.amdhsa_float_round_mode_32 0
		.amdhsa_float_round_mode_16_64 0
		.amdhsa_float_denorm_mode_32 3
		.amdhsa_float_denorm_mode_16_64 3
		.amdhsa_dx10_clamp 1
		.amdhsa_ieee_mode 1
		.amdhsa_fp16_overflow 0
		.amdhsa_workgroup_processor_mode 1
		.amdhsa_memory_ordered 1
		.amdhsa_forward_progress 1
		.amdhsa_shared_vgpr_count 0
		.amdhsa_exception_fp_ieee_invalid_op 0
		.amdhsa_exception_fp_denorm_src 0
		.amdhsa_exception_fp_ieee_div_zero 0
		.amdhsa_exception_fp_ieee_overflow 0
		.amdhsa_exception_fp_ieee_underflow 0
		.amdhsa_exception_fp_ieee_inexact 0
		.amdhsa_exception_int_div_zero 0
	.end_amdhsa_kernel
	.section	.text._ZN9rocsparseL22bsrxmvn_general_kernelILj256ELj16EfllfffEEv20rocsparse_direction_NS_24const_host_device_scalarIT1_EET3_PKS5_PKT2_SA_S7_PKT4_S5_PKT5_S4_PT6_21rocsparse_index_base_b,"axG",@progbits,_ZN9rocsparseL22bsrxmvn_general_kernelILj256ELj16EfllfffEEv20rocsparse_direction_NS_24const_host_device_scalarIT1_EET3_PKS5_PKT2_SA_S7_PKT4_S5_PKT5_S4_PT6_21rocsparse_index_base_b,comdat
.Lfunc_end25:
	.size	_ZN9rocsparseL22bsrxmvn_general_kernelILj256ELj16EfllfffEEv20rocsparse_direction_NS_24const_host_device_scalarIT1_EET3_PKS5_PKT2_SA_S7_PKT4_S5_PKT5_S4_PT6_21rocsparse_index_base_b, .Lfunc_end25-_ZN9rocsparseL22bsrxmvn_general_kernelILj256ELj16EfllfffEEv20rocsparse_direction_NS_24const_host_device_scalarIT1_EET3_PKS5_PKT2_SA_S7_PKT4_S5_PKT5_S4_PT6_21rocsparse_index_base_b
                                        ; -- End function
	.set _ZN9rocsparseL22bsrxmvn_general_kernelILj256ELj16EfllfffEEv20rocsparse_direction_NS_24const_host_device_scalarIT1_EET3_PKS5_PKT2_SA_S7_PKT4_S5_PKT5_S4_PT6_21rocsparse_index_base_b.num_vgpr, 23
	.set _ZN9rocsparseL22bsrxmvn_general_kernelILj256ELj16EfllfffEEv20rocsparse_direction_NS_24const_host_device_scalarIT1_EET3_PKS5_PKT2_SA_S7_PKT4_S5_PKT5_S4_PT6_21rocsparse_index_base_b.num_agpr, 0
	.set _ZN9rocsparseL22bsrxmvn_general_kernelILj256ELj16EfllfffEEv20rocsparse_direction_NS_24const_host_device_scalarIT1_EET3_PKS5_PKT2_SA_S7_PKT4_S5_PKT5_S4_PT6_21rocsparse_index_base_b.numbered_sgpr, 37
	.set _ZN9rocsparseL22bsrxmvn_general_kernelILj256ELj16EfllfffEEv20rocsparse_direction_NS_24const_host_device_scalarIT1_EET3_PKS5_PKT2_SA_S7_PKT4_S5_PKT5_S4_PT6_21rocsparse_index_base_b.num_named_barrier, 0
	.set _ZN9rocsparseL22bsrxmvn_general_kernelILj256ELj16EfllfffEEv20rocsparse_direction_NS_24const_host_device_scalarIT1_EET3_PKS5_PKT2_SA_S7_PKT4_S5_PKT5_S4_PT6_21rocsparse_index_base_b.private_seg_size, 0
	.set _ZN9rocsparseL22bsrxmvn_general_kernelILj256ELj16EfllfffEEv20rocsparse_direction_NS_24const_host_device_scalarIT1_EET3_PKS5_PKT2_SA_S7_PKT4_S5_PKT5_S4_PT6_21rocsparse_index_base_b.uses_vcc, 1
	.set _ZN9rocsparseL22bsrxmvn_general_kernelILj256ELj16EfllfffEEv20rocsparse_direction_NS_24const_host_device_scalarIT1_EET3_PKS5_PKT2_SA_S7_PKT4_S5_PKT5_S4_PT6_21rocsparse_index_base_b.uses_flat_scratch, 0
	.set _ZN9rocsparseL22bsrxmvn_general_kernelILj256ELj16EfllfffEEv20rocsparse_direction_NS_24const_host_device_scalarIT1_EET3_PKS5_PKT2_SA_S7_PKT4_S5_PKT5_S4_PT6_21rocsparse_index_base_b.has_dyn_sized_stack, 0
	.set _ZN9rocsparseL22bsrxmvn_general_kernelILj256ELj16EfllfffEEv20rocsparse_direction_NS_24const_host_device_scalarIT1_EET3_PKS5_PKT2_SA_S7_PKT4_S5_PKT5_S4_PT6_21rocsparse_index_base_b.has_recursion, 0
	.set _ZN9rocsparseL22bsrxmvn_general_kernelILj256ELj16EfllfffEEv20rocsparse_direction_NS_24const_host_device_scalarIT1_EET3_PKS5_PKT2_SA_S7_PKT4_S5_PKT5_S4_PT6_21rocsparse_index_base_b.has_indirect_call, 0
	.section	.AMDGPU.csdata,"",@progbits
; Kernel info:
; codeLenInByte = 1180
; TotalNumSgprs: 39
; NumVgprs: 23
; ScratchSize: 0
; MemoryBound: 0
; FloatMode: 240
; IeeeMode: 1
; LDSByteSize: 0 bytes/workgroup (compile time only)
; SGPRBlocks: 0
; VGPRBlocks: 2
; NumSGPRsForWavesPerEU: 39
; NumVGPRsForWavesPerEU: 23
; Occupancy: 16
; WaveLimiterHint : 0
; COMPUTE_PGM_RSRC2:SCRATCH_EN: 0
; COMPUTE_PGM_RSRC2:USER_SGPR: 6
; COMPUTE_PGM_RSRC2:TRAP_HANDLER: 0
; COMPUTE_PGM_RSRC2:TGID_X_EN: 1
; COMPUTE_PGM_RSRC2:TGID_Y_EN: 0
; COMPUTE_PGM_RSRC2:TGID_Z_EN: 0
; COMPUTE_PGM_RSRC2:TIDIG_COMP_CNT: 0
	.section	.text._ZN9rocsparseL22bsrxmvn_general_kernelILj1024ELj32EfllfffEEv20rocsparse_direction_NS_24const_host_device_scalarIT1_EET3_PKS5_PKT2_SA_S7_PKT4_S5_PKT5_S4_PT6_21rocsparse_index_base_b,"axG",@progbits,_ZN9rocsparseL22bsrxmvn_general_kernelILj1024ELj32EfllfffEEv20rocsparse_direction_NS_24const_host_device_scalarIT1_EET3_PKS5_PKT2_SA_S7_PKT4_S5_PKT5_S4_PT6_21rocsparse_index_base_b,comdat
	.globl	_ZN9rocsparseL22bsrxmvn_general_kernelILj1024ELj32EfllfffEEv20rocsparse_direction_NS_24const_host_device_scalarIT1_EET3_PKS5_PKT2_SA_S7_PKT4_S5_PKT5_S4_PT6_21rocsparse_index_base_b ; -- Begin function _ZN9rocsparseL22bsrxmvn_general_kernelILj1024ELj32EfllfffEEv20rocsparse_direction_NS_24const_host_device_scalarIT1_EET3_PKS5_PKT2_SA_S7_PKT4_S5_PKT5_S4_PT6_21rocsparse_index_base_b
	.p2align	8
	.type	_ZN9rocsparseL22bsrxmvn_general_kernelILj1024ELj32EfllfffEEv20rocsparse_direction_NS_24const_host_device_scalarIT1_EET3_PKS5_PKT2_SA_S7_PKT4_S5_PKT5_S4_PT6_21rocsparse_index_base_b,@function
_ZN9rocsparseL22bsrxmvn_general_kernelILj1024ELj32EfllfffEEv20rocsparse_direction_NS_24const_host_device_scalarIT1_EET3_PKS5_PKT2_SA_S7_PKT4_S5_PKT5_S4_PT6_21rocsparse_index_base_b: ; @_ZN9rocsparseL22bsrxmvn_general_kernelILj1024ELj32EfllfffEEv20rocsparse_direction_NS_24const_host_device_scalarIT1_EET3_PKS5_PKT2_SA_S7_PKT4_S5_PKT5_S4_PT6_21rocsparse_index_base_b
; %bb.0:
	s_clause 0x2
	s_load_dwordx2 s[16:17], s[4:5], 0x60
	s_load_dwordx2 s[18:19], s[4:5], 0x8
	;; [unrolled: 1-line block ×3, first 2 shown]
	s_waitcnt lgkmcnt(0)
	s_bitcmp1_b32 s17, 0
	s_cselect_b32 s0, -1, 0
	s_and_b32 vcc_lo, exec_lo, s0
	s_xor_b32 s0, s0, -1
	s_cbranch_vccnz .LBB26_2
; %bb.1:
	s_load_dword s18, s[18:19], 0x0
.LBB26_2:
	s_andn2_b32 vcc_lo, exec_lo, s0
	s_cbranch_vccnz .LBB26_4
; %bb.3:
	s_load_dword s20, s[20:21], 0x0
.LBB26_4:
	s_waitcnt lgkmcnt(0)
	v_cmp_neq_f32_e64 s0, s18, 0
	v_cmp_neq_f32_e64 s1, s20, 1.0
	s_mov_b32 s7, 0
	s_or_b32 s0, s0, s1
	s_andn2_b32 vcc_lo, exec_lo, s0
	s_cbranch_vccnz .LBB26_26
; %bb.5:
	s_load_dwordx2 s[0:1], s[4:5], 0x18
	s_waitcnt lgkmcnt(0)
	s_cmp_eq_u64 s[0:1], 0
	s_cbranch_scc1 .LBB26_7
; %bb.6:
	s_lshl_b64 s[2:3], s[6:7], 3
	s_add_u32 s0, s0, s2
	s_addc_u32 s1, s1, s3
	s_load_dwordx2 s[0:1], s[0:1], 0x0
	s_waitcnt lgkmcnt(0)
	s_sub_u32 s6, s0, s16
	s_subb_u32 s7, s1, 0
.LBB26_7:
	s_load_dwordx2 s[22:23], s[4:5], 0x40
	v_lshrrev_b32_e32 v1, 5, v0
	v_mov_b32_e32 v2, 0
	s_mov_b32 s0, exec_lo
	s_waitcnt lgkmcnt(0)
	v_cmpx_gt_i64_e64 s[22:23], v[1:2]
	s_cbranch_execz .LBB26_26
; %bb.8:
	s_load_dwordx8 s[8:15], s[4:5], 0x20
	s_lshl_b64 s[26:27], s[6:7], 3
	s_clause 0x1
	s_load_dwordx2 s[2:3], s[4:5], 0x58
	s_load_dwordx2 s[24:25], s[4:5], 0x48
	v_and_b32_e32 v3, 31, v0
	v_mbcnt_lo_u32_b32 v0, -1, 0
	s_load_dword s21, s[4:5], 0x0
	s_mul_i32 s31, s6, s23
	s_mul_hi_u32 s33, s6, s22
	s_mul_i32 s30, s6, s22
	v_xor_b32_e32 v5, 16, v0
	v_xor_b32_e32 v6, 8, v0
	s_mul_i32 s34, s7, s22
	v_xor_b32_e32 v7, 4, v0
	v_xor_b32_e32 v8, 2, v0
	v_cmp_gt_i32_e32 vcc_lo, 32, v5
	v_xor_b32_e32 v9, 1, v0
	v_lshlrev_b32_e32 v10, 2, v3
	v_mov_b32_e32 v4, v2
	s_mul_i32 s35, s22, s23
	v_cndmask_b32_e32 v11, v0, v5, vcc_lo
	s_waitcnt lgkmcnt(0)
	s_add_u32 s28, s8, s26
	s_addc_u32 s29, s9, s27
	v_cmp_gt_i32_e32 vcc_lo, 32, v6
	s_load_dwordx2 s[8:9], s[28:29], 0x0
	s_mul_hi_u32 s36, s22, s22
	v_cmp_gt_u64_e64 s0, s[22:23], v[3:4]
	v_cmp_eq_f32_e64 s19, s20, 0
	v_cndmask_b32_e32 v12, v0, v6, vcc_lo
	v_cmp_gt_i32_e32 vcc_lo, 32, v7
	v_cmp_eq_u32_e64 s1, 31, v3
	s_mov_b32 s17, 0
	v_lshlrev_b32_e32 v17, 2, v12
	v_cndmask_b32_e32 v7, v0, v7, vcc_lo
	v_cmp_gt_i32_e32 vcc_lo, 32, v8
	v_lshlrev_b32_e32 v18, 2, v7
	v_cndmask_b32_e32 v8, v0, v8, vcc_lo
	v_cmp_gt_i32_e32 vcc_lo, 32, v9
	s_waitcnt lgkmcnt(0)
	s_sub_u32 s4, s8, s16
	s_subb_u32 s5, s9, 0
	s_add_u32 s6, s28, 8
	s_addc_u32 s7, s29, 0
	s_add_u32 s26, s10, s26
	s_addc_u32 s27, s11, s27
	s_cmp_eq_u64 s[10:11], 0
	v_mad_u64_u32 v[5:6], null, s22, s4, v[1:2]
	s_cselect_b32 s7, s7, s27
	s_cselect_b32 s6, s6, s26
	v_cndmask_b32_e32 v9, v0, v9, vcc_lo
	s_load_dwordx2 s[10:11], s[6:7], 0x0
	s_mul_i32 s6, s23, s4
	s_mul_i32 s7, s22, s5
	v_lshlrev_b32_e32 v0, 2, v11
	v_add3_u32 v7, s7, s6, v6
	v_lshlrev_b32_e32 v20, 2, v9
	v_mul_lo_u32 v9, s23, v5
	v_mad_u64_u32 v[5:6], null, s22, v5, 0
	v_mul_lo_u32 v11, s22, v7
	v_add_co_u32 v7, s24, s24, v10
	v_lshlrev_b32_e32 v19, 2, v8
	v_add_co_ci_u32_e64 v8, null, s25, 0, s24
	s_mul_i32 s29, s22, s22
	v_add3_u32 v6, v6, v11, v9
	s_waitcnt lgkmcnt(0)
	s_sub_u32 s6, s10, s16
	s_subb_u32 s7, s11, 0
	s_cmp_lg_u32 s21, 0
	s_cselect_b32 s21, -1, 0
	s_add_i32 s26, s33, s31
	s_add_i32 s31, s26, s34
	v_cmp_lt_i64_e64 s26, s[8:9], s[10:11]
	s_lshl_b64 s[24:25], s[30:31], 2
	s_add_u32 s27, s2, s24
	s_addc_u32 s3, s3, s25
	s_add_i32 s2, s36, s35
	s_lshl_b64 s[8:9], s[22:23], 2
	s_lshl_b64 s[10:11], s[22:23], 5
	s_add_i32 s28, s2, s35
	s_branch .LBB26_10
.LBB26_9:                               ;   in Loop: Header=BB26_10 Depth=1
	s_or_b32 exec_lo, exec_lo, s2
	v_add_co_u32 v1, vcc_lo, v1, 32
	v_add_co_ci_u32_e64 v2, null, 0, v2, vcc_lo
	v_add_co_u32 v5, s2, v5, s10
	v_add_co_ci_u32_e64 v6, null, s11, v6, s2
	v_cmp_le_i64_e32 vcc_lo, s[22:23], v[1:2]
	s_or_b32 s17, vcc_lo, s17
	s_andn2_b32 exec_lo, exec_lo, s17
	s_cbranch_execz .LBB26_26
.LBB26_10:                              ; =>This Loop Header: Depth=1
                                        ;     Child Loop BB26_14 Depth 2
                                        ;       Child Loop BB26_17 Depth 3
	v_mov_b32_e32 v21, 0
	s_andn2_b32 vcc_lo, exec_lo, s26
	s_cbranch_vccnz .LBB26_21
; %bb.11:                               ;   in Loop: Header=BB26_10 Depth=1
	s_waitcnt lgkmcnt(0)
	v_mov_b32_e32 v10, v6
	v_mov_b32_e32 v21, 0
	v_mov_b32_e32 v9, v5
	s_mov_b64 s[24:25], s[4:5]
	s_branch .LBB26_14
.LBB26_12:                              ;   in Loop: Header=BB26_14 Depth=2
	s_or_b32 exec_lo, exec_lo, s33
.LBB26_13:                              ;   in Loop: Header=BB26_14 Depth=2
	s_or_b32 exec_lo, exec_lo, s30
	s_add_u32 s24, s24, 1
	s_addc_u32 s25, s25, 0
	v_add_co_u32 v9, vcc_lo, v9, s29
	v_cmp_ge_i64_e64 s2, s[24:25], s[6:7]
	v_add_co_ci_u32_e64 v10, null, s28, v10, vcc_lo
	s_and_b32 vcc_lo, exec_lo, s2
	s_cbranch_vccnz .LBB26_21
.LBB26_14:                              ;   Parent Loop BB26_10 Depth=1
                                        ; =>  This Loop Header: Depth=2
                                        ;       Child Loop BB26_17 Depth 3
	s_and_saveexec_b32 s30, s0
	s_cbranch_execz .LBB26_13
; %bb.15:                               ;   in Loop: Header=BB26_14 Depth=2
	s_lshl_b64 s[34:35], s[24:25], 3
	s_mul_i32 s31, s24, s23
	s_add_u32 s34, s12, s34
	s_addc_u32 s35, s13, s35
	s_mul_hi_u32 s33, s24, s22
	s_load_dwordx2 s[34:35], s[34:35], 0x0
	v_mov_b32_e32 v14, v4
	v_mov_b32_e32 v13, v3
	s_waitcnt lgkmcnt(0)
	s_sub_u32 s2, s34, s16
	s_subb_u32 s35, s35, 0
	v_mad_u64_u32 v[11:12], null, s8, s2, v[7:8]
	s_mul_i32 s2, s9, s2
	s_mul_i32 s35, s8, s35
	;; [unrolled: 1-line block ×3, first 2 shown]
	s_add_i32 s31, s33, s31
	s_mov_b32 s33, 0
	s_add_i32 s31, s31, s34
	v_add3_u32 v12, s35, s2, v12
	s_mul_i32 s34, s24, s22
	s_branch .LBB26_17
.LBB26_16:                              ;   in Loop: Header=BB26_17 Depth=3
	v_lshlrev_b64 v[15:16], 2, v[15:16]
	v_add_co_u32 v15, vcc_lo, s14, v15
	v_add_co_ci_u32_e64 v16, null, s15, v16, vcc_lo
	v_add_co_u32 v13, vcc_lo, v13, 32
	global_load_dword v22, v[11:12], off
	global_load_dword v15, v[15:16], off
	v_add_co_ci_u32_e64 v14, null, 0, v14, vcc_lo
	v_add_co_u32 v11, s2, 0x80, v11
	v_add_co_ci_u32_e64 v12, null, 0, v12, s2
	v_cmp_le_i64_e32 vcc_lo, s[22:23], v[13:14]
	s_or_b32 s33, vcc_lo, s33
	s_waitcnt vmcnt(0)
	v_fmac_f32_e32 v21, v15, v22
	s_andn2_b32 exec_lo, exec_lo, s33
	s_cbranch_execz .LBB26_12
.LBB26_17:                              ;   Parent Loop BB26_10 Depth=1
                                        ;     Parent Loop BB26_14 Depth=2
                                        ; =>    This Inner Loop Header: Depth=3
	s_and_b32 vcc_lo, exec_lo, s21
	s_cbranch_vccz .LBB26_19
; %bb.18:                               ;   in Loop: Header=BB26_17 Depth=3
	v_add_co_u32 v15, vcc_lo, v13, s34
	v_add_co_ci_u32_e64 v16, null, s31, v14, vcc_lo
	v_mul_lo_u32 v22, v15, s23
	v_mul_lo_u32 v23, v16, s22
	v_mad_u64_u32 v[15:16], null, v15, s22, v[1:2]
	v_add3_u32 v16, v23, v16, v22
	s_cbranch_execnz .LBB26_16
	s_branch .LBB26_20
.LBB26_19:                              ;   in Loop: Header=BB26_17 Depth=3
                                        ; implicit-def: $vgpr15_vgpr16
.LBB26_20:                              ;   in Loop: Header=BB26_17 Depth=3
	v_add_co_u32 v15, vcc_lo, v9, v13
	v_add_co_ci_u32_e64 v16, null, v10, v14, vcc_lo
	s_branch .LBB26_16
.LBB26_21:                              ;   in Loop: Header=BB26_10 Depth=1
	ds_bpermute_b32 v9, v0, v21
	s_waitcnt lgkmcnt(0)
	v_add_f32_e32 v9, v21, v9
	ds_bpermute_b32 v10, v17, v9
	s_waitcnt lgkmcnt(0)
	v_add_f32_e32 v9, v9, v10
	;; [unrolled: 3-line block ×4, first 2 shown]
	ds_bpermute_b32 v10, v20, v9
	s_and_saveexec_b32 s2, s1
	s_cbranch_execz .LBB26_9
; %bb.22:                               ;   in Loop: Header=BB26_10 Depth=1
	s_waitcnt lgkmcnt(0)
	v_add_f32_e32 v11, v9, v10
	v_lshlrev_b64 v[9:10], 2, v[1:2]
	s_and_b32 vcc_lo, exec_lo, s19
	v_mul_f32_e32 v11, s18, v11
	s_cbranch_vccz .LBB26_24
; %bb.23:                               ;   in Loop: Header=BB26_10 Depth=1
	v_add_co_u32 v12, vcc_lo, s27, v9
	v_add_co_ci_u32_e64 v13, null, s3, v10, vcc_lo
	global_store_dword v[12:13], v11, off
	s_cbranch_execnz .LBB26_9
	s_branch .LBB26_25
.LBB26_24:                              ;   in Loop: Header=BB26_10 Depth=1
.LBB26_25:                              ;   in Loop: Header=BB26_10 Depth=1
	v_add_co_u32 v9, vcc_lo, s27, v9
	v_add_co_ci_u32_e64 v10, null, s3, v10, vcc_lo
	global_load_dword v12, v[9:10], off
	s_waitcnt vmcnt(0)
	v_fmac_f32_e32 v11, s20, v12
	global_store_dword v[9:10], v11, off
	s_branch .LBB26_9
.LBB26_26:
	s_endpgm
	.section	.rodata,"a",@progbits
	.p2align	6, 0x0
	.amdhsa_kernel _ZN9rocsparseL22bsrxmvn_general_kernelILj1024ELj32EfllfffEEv20rocsparse_direction_NS_24const_host_device_scalarIT1_EET3_PKS5_PKT2_SA_S7_PKT4_S5_PKT5_S4_PT6_21rocsparse_index_base_b
		.amdhsa_group_segment_fixed_size 0
		.amdhsa_private_segment_fixed_size 0
		.amdhsa_kernarg_size 104
		.amdhsa_user_sgpr_count 6
		.amdhsa_user_sgpr_private_segment_buffer 1
		.amdhsa_user_sgpr_dispatch_ptr 0
		.amdhsa_user_sgpr_queue_ptr 0
		.amdhsa_user_sgpr_kernarg_segment_ptr 1
		.amdhsa_user_sgpr_dispatch_id 0
		.amdhsa_user_sgpr_flat_scratch_init 0
		.amdhsa_user_sgpr_private_segment_size 0
		.amdhsa_wavefront_size32 1
		.amdhsa_uses_dynamic_stack 0
		.amdhsa_system_sgpr_private_segment_wavefront_offset 0
		.amdhsa_system_sgpr_workgroup_id_x 1
		.amdhsa_system_sgpr_workgroup_id_y 0
		.amdhsa_system_sgpr_workgroup_id_z 0
		.amdhsa_system_sgpr_workgroup_info 0
		.amdhsa_system_vgpr_workitem_id 0
		.amdhsa_next_free_vgpr 24
		.amdhsa_next_free_sgpr 37
		.amdhsa_reserve_vcc 1
		.amdhsa_reserve_flat_scratch 0
		.amdhsa_float_round_mode_32 0
		.amdhsa_float_round_mode_16_64 0
		.amdhsa_float_denorm_mode_32 3
		.amdhsa_float_denorm_mode_16_64 3
		.amdhsa_dx10_clamp 1
		.amdhsa_ieee_mode 1
		.amdhsa_fp16_overflow 0
		.amdhsa_workgroup_processor_mode 1
		.amdhsa_memory_ordered 1
		.amdhsa_forward_progress 1
		.amdhsa_shared_vgpr_count 0
		.amdhsa_exception_fp_ieee_invalid_op 0
		.amdhsa_exception_fp_denorm_src 0
		.amdhsa_exception_fp_ieee_div_zero 0
		.amdhsa_exception_fp_ieee_overflow 0
		.amdhsa_exception_fp_ieee_underflow 0
		.amdhsa_exception_fp_ieee_inexact 0
		.amdhsa_exception_int_div_zero 0
	.end_amdhsa_kernel
	.section	.text._ZN9rocsparseL22bsrxmvn_general_kernelILj1024ELj32EfllfffEEv20rocsparse_direction_NS_24const_host_device_scalarIT1_EET3_PKS5_PKT2_SA_S7_PKT4_S5_PKT5_S4_PT6_21rocsparse_index_base_b,"axG",@progbits,_ZN9rocsparseL22bsrxmvn_general_kernelILj1024ELj32EfllfffEEv20rocsparse_direction_NS_24const_host_device_scalarIT1_EET3_PKS5_PKT2_SA_S7_PKT4_S5_PKT5_S4_PT6_21rocsparse_index_base_b,comdat
.Lfunc_end26:
	.size	_ZN9rocsparseL22bsrxmvn_general_kernelILj1024ELj32EfllfffEEv20rocsparse_direction_NS_24const_host_device_scalarIT1_EET3_PKS5_PKT2_SA_S7_PKT4_S5_PKT5_S4_PT6_21rocsparse_index_base_b, .Lfunc_end26-_ZN9rocsparseL22bsrxmvn_general_kernelILj1024ELj32EfllfffEEv20rocsparse_direction_NS_24const_host_device_scalarIT1_EET3_PKS5_PKT2_SA_S7_PKT4_S5_PKT5_S4_PT6_21rocsparse_index_base_b
                                        ; -- End function
	.set _ZN9rocsparseL22bsrxmvn_general_kernelILj1024ELj32EfllfffEEv20rocsparse_direction_NS_24const_host_device_scalarIT1_EET3_PKS5_PKT2_SA_S7_PKT4_S5_PKT5_S4_PT6_21rocsparse_index_base_b.num_vgpr, 24
	.set _ZN9rocsparseL22bsrxmvn_general_kernelILj1024ELj32EfllfffEEv20rocsparse_direction_NS_24const_host_device_scalarIT1_EET3_PKS5_PKT2_SA_S7_PKT4_S5_PKT5_S4_PT6_21rocsparse_index_base_b.num_agpr, 0
	.set _ZN9rocsparseL22bsrxmvn_general_kernelILj1024ELj32EfllfffEEv20rocsparse_direction_NS_24const_host_device_scalarIT1_EET3_PKS5_PKT2_SA_S7_PKT4_S5_PKT5_S4_PT6_21rocsparse_index_base_b.numbered_sgpr, 37
	.set _ZN9rocsparseL22bsrxmvn_general_kernelILj1024ELj32EfllfffEEv20rocsparse_direction_NS_24const_host_device_scalarIT1_EET3_PKS5_PKT2_SA_S7_PKT4_S5_PKT5_S4_PT6_21rocsparse_index_base_b.num_named_barrier, 0
	.set _ZN9rocsparseL22bsrxmvn_general_kernelILj1024ELj32EfllfffEEv20rocsparse_direction_NS_24const_host_device_scalarIT1_EET3_PKS5_PKT2_SA_S7_PKT4_S5_PKT5_S4_PT6_21rocsparse_index_base_b.private_seg_size, 0
	.set _ZN9rocsparseL22bsrxmvn_general_kernelILj1024ELj32EfllfffEEv20rocsparse_direction_NS_24const_host_device_scalarIT1_EET3_PKS5_PKT2_SA_S7_PKT4_S5_PKT5_S4_PT6_21rocsparse_index_base_b.uses_vcc, 1
	.set _ZN9rocsparseL22bsrxmvn_general_kernelILj1024ELj32EfllfffEEv20rocsparse_direction_NS_24const_host_device_scalarIT1_EET3_PKS5_PKT2_SA_S7_PKT4_S5_PKT5_S4_PT6_21rocsparse_index_base_b.uses_flat_scratch, 0
	.set _ZN9rocsparseL22bsrxmvn_general_kernelILj1024ELj32EfllfffEEv20rocsparse_direction_NS_24const_host_device_scalarIT1_EET3_PKS5_PKT2_SA_S7_PKT4_S5_PKT5_S4_PT6_21rocsparse_index_base_b.has_dyn_sized_stack, 0
	.set _ZN9rocsparseL22bsrxmvn_general_kernelILj1024ELj32EfllfffEEv20rocsparse_direction_NS_24const_host_device_scalarIT1_EET3_PKS5_PKT2_SA_S7_PKT4_S5_PKT5_S4_PT6_21rocsparse_index_base_b.has_recursion, 0
	.set _ZN9rocsparseL22bsrxmvn_general_kernelILj1024ELj32EfllfffEEv20rocsparse_direction_NS_24const_host_device_scalarIT1_EET3_PKS5_PKT2_SA_S7_PKT4_S5_PKT5_S4_PT6_21rocsparse_index_base_b.has_indirect_call, 0
	.section	.AMDGPU.csdata,"",@progbits
; Kernel info:
; codeLenInByte = 1216
; TotalNumSgprs: 39
; NumVgprs: 24
; ScratchSize: 0
; MemoryBound: 0
; FloatMode: 240
; IeeeMode: 1
; LDSByteSize: 0 bytes/workgroup (compile time only)
; SGPRBlocks: 0
; VGPRBlocks: 2
; NumSGPRsForWavesPerEU: 39
; NumVGPRsForWavesPerEU: 24
; Occupancy: 16
; WaveLimiterHint : 0
; COMPUTE_PGM_RSRC2:SCRATCH_EN: 0
; COMPUTE_PGM_RSRC2:USER_SGPR: 6
; COMPUTE_PGM_RSRC2:TRAP_HANDLER: 0
; COMPUTE_PGM_RSRC2:TGID_X_EN: 1
; COMPUTE_PGM_RSRC2:TGID_Y_EN: 0
; COMPUTE_PGM_RSRC2:TGID_Z_EN: 0
; COMPUTE_PGM_RSRC2:TIDIG_COMP_CNT: 0
	.section	.text._ZN9rocsparseL22bsrxmvn_general_kernelILj64ELj8EdlldddEEv20rocsparse_direction_NS_24const_host_device_scalarIT1_EET3_PKS5_PKT2_SA_S7_PKT4_S5_PKT5_S4_PT6_21rocsparse_index_base_b,"axG",@progbits,_ZN9rocsparseL22bsrxmvn_general_kernelILj64ELj8EdlldddEEv20rocsparse_direction_NS_24const_host_device_scalarIT1_EET3_PKS5_PKT2_SA_S7_PKT4_S5_PKT5_S4_PT6_21rocsparse_index_base_b,comdat
	.globl	_ZN9rocsparseL22bsrxmvn_general_kernelILj64ELj8EdlldddEEv20rocsparse_direction_NS_24const_host_device_scalarIT1_EET3_PKS5_PKT2_SA_S7_PKT4_S5_PKT5_S4_PT6_21rocsparse_index_base_b ; -- Begin function _ZN9rocsparseL22bsrxmvn_general_kernelILj64ELj8EdlldddEEv20rocsparse_direction_NS_24const_host_device_scalarIT1_EET3_PKS5_PKT2_SA_S7_PKT4_S5_PKT5_S4_PT6_21rocsparse_index_base_b
	.p2align	8
	.type	_ZN9rocsparseL22bsrxmvn_general_kernelILj64ELj8EdlldddEEv20rocsparse_direction_NS_24const_host_device_scalarIT1_EET3_PKS5_PKT2_SA_S7_PKT4_S5_PKT5_S4_PT6_21rocsparse_index_base_b,@function
_ZN9rocsparseL22bsrxmvn_general_kernelILj64ELj8EdlldddEEv20rocsparse_direction_NS_24const_host_device_scalarIT1_EET3_PKS5_PKT2_SA_S7_PKT4_S5_PKT5_S4_PT6_21rocsparse_index_base_b: ; @_ZN9rocsparseL22bsrxmvn_general_kernelILj64ELj8EdlldddEEv20rocsparse_direction_NS_24const_host_device_scalarIT1_EET3_PKS5_PKT2_SA_S7_PKT4_S5_PKT5_S4_PT6_21rocsparse_index_base_b
; %bb.0:
	s_clause 0x2
	s_load_dwordx2 s[16:17], s[4:5], 0x60
	s_load_dwordx2 s[2:3], s[4:5], 0x8
	;; [unrolled: 1-line block ×3, first 2 shown]
	s_waitcnt lgkmcnt(0)
	s_bitcmp1_b32 s17, 0
	v_mov_b32_e32 v1, s2
	v_mov_b32_e32 v2, s3
	s_cselect_b32 s7, -1, 0
	s_and_b32 vcc_lo, exec_lo, s7
	s_xor_b32 s7, s7, -1
	s_cbranch_vccnz .LBB27_2
; %bb.1:
	v_mov_b32_e32 v1, s2
	v_mov_b32_e32 v2, s3
	flat_load_dwordx2 v[1:2], v[1:2]
.LBB27_2:
	v_mov_b32_e32 v4, s1
	v_mov_b32_e32 v3, s0
	s_andn2_b32 vcc_lo, exec_lo, s7
	s_cbranch_vccnz .LBB27_4
; %bb.3:
	v_mov_b32_e32 v4, s1
	v_mov_b32_e32 v3, s0
	flat_load_dwordx2 v[3:4], v[3:4]
.LBB27_4:
	s_waitcnt vmcnt(0) lgkmcnt(0)
	v_cmp_neq_f64_e32 vcc_lo, 0, v[1:2]
	v_cmp_neq_f64_e64 s0, 1.0, v[3:4]
	s_or_b32 s0, vcc_lo, s0
	s_and_saveexec_b32 s1, s0
	s_cbranch_execz .LBB27_26
; %bb.5:
	s_load_dwordx2 s[0:1], s[4:5], 0x18
	s_mov_b32 s7, 0
	s_waitcnt lgkmcnt(0)
	s_cmp_eq_u64 s[0:1], 0
	s_cbranch_scc1 .LBB27_7
; %bb.6:
	s_lshl_b64 s[2:3], s[6:7], 3
	s_add_u32 s0, s0, s2
	s_addc_u32 s1, s1, s3
	s_load_dwordx2 s[0:1], s[0:1], 0x0
	s_waitcnt lgkmcnt(0)
	s_sub_u32 s6, s0, s16
	s_subb_u32 s7, s1, 0
.LBB27_7:
	s_load_dwordx2 s[18:19], s[4:5], 0x40
	v_lshrrev_b32_e32 v5, 3, v0
	v_mov_b32_e32 v6, 0
	s_waitcnt lgkmcnt(0)
	v_cmp_gt_i64_e32 vcc_lo, s[18:19], v[5:6]
	s_and_b32 exec_lo, exec_lo, vcc_lo
	s_cbranch_execz .LBB27_26
; %bb.8:
	s_load_dwordx8 s[8:15], s[4:5], 0x20
	s_lshl_b64 s[2:3], s[6:7], 3
	v_and_b32_e32 v7, 7, v0
	v_mbcnt_lo_u32_b32 v0, -1, 0
	s_load_dword s27, s[4:5], 0x0
	s_mul_i32 s28, s6, s19
	s_mul_hi_u32 s29, s6, s18
	s_mul_i32 s26, s6, s18
	v_xor_b32_e32 v9, 4, v0
	s_mul_i32 s30, s7, s18
	v_xor_b32_e32 v10, 2, v0
	v_xor_b32_e32 v11, 1, v0
	v_cmp_eq_f64_e64 s0, 0, v[3:4]
	v_cmp_gt_i32_e32 vcc_lo, 32, v9
	v_lshlrev_b32_e32 v12, 3, v7
	v_mov_b32_e32 v8, v6
	s_mul_i32 s31, s18, s19
	s_mul_hi_u32 s33, s18, s18
	v_cndmask_b32_e32 v13, v0, v9, vcc_lo
	v_cmp_gt_i32_e32 vcc_lo, 32, v10
	s_waitcnt lgkmcnt(0)
	s_add_u32 s24, s8, s2
	s_addc_u32 s25, s9, s3
	v_cmp_gt_u64_e64 s1, s[18:19], v[7:8]
	s_load_dwordx2 s[20:21], s[24:25], 0x0
	s_clause 0x1
	s_load_dwordx2 s[8:9], s[4:5], 0x58
	s_load_dwordx2 s[22:23], s[4:5], 0x48
	v_cndmask_b32_e32 v14, v0, v10, vcc_lo
	v_cmp_gt_i32_e32 vcc_lo, 32, v11
	s_mov_b32 s17, 0
	v_lshlrev_b32_e32 v23, 2, v14
	v_cndmask_b32_e32 v11, v0, v11, vcc_lo
	v_lshlrev_b32_e32 v0, 2, v13
	v_lshlrev_b32_e32 v24, 2, v11
	s_waitcnt lgkmcnt(0)
	s_sub_u32 s4, s20, s16
	s_subb_u32 s5, s21, 0
	s_add_u32 s6, s24, 8
	s_addc_u32 s7, s25, 0
	s_add_u32 s2, s10, s2
	s_addc_u32 s3, s11, s3
	s_cmp_eq_u64 s[10:11], 0
	v_mad_u64_u32 v[9:10], null, s18, s4, v[5:6]
	s_cselect_b32 s3, s7, s3
	s_cselect_b32 s2, s6, s2
	s_mul_i32 s6, s18, s5
	s_load_dwordx2 s[10:11], s[2:3], 0x0
	s_mul_i32 s3, s19, s4
	v_cmp_eq_u32_e64 s2, 7, v7
	v_add3_u32 v11, s6, s3, v10
	v_mul_lo_u32 v13, s19, v9
	v_mad_u64_u32 v[9:10], null, s18, v9, 0
	s_mul_i32 s25, s18, s18
	v_mul_lo_u32 v14, s18, v11
	v_add_co_u32 v11, s22, s22, v12
	v_add_co_ci_u32_e64 v12, null, s23, 0, s22
	v_add3_u32 v10, v10, v14, v13
	s_waitcnt lgkmcnt(0)
	s_sub_u32 s6, s10, s16
	s_subb_u32 s7, s11, 0
	s_cmp_lg_u32 s27, 0
	v_cmp_lt_i64_e64 s20, s[20:21], s[10:11]
	s_cselect_b32 s24, -1, 0
	s_add_i32 s3, s29, s28
	s_add_i32 s27, s3, s30
	s_lshl_b64 s[22:23], s[26:27], 3
	s_add_u32 s21, s8, s22
	s_addc_u32 s22, s9, s23
	s_add_i32 s3, s33, s31
	s_lshl_b64 s[8:9], s[18:19], 3
	s_add_i32 s23, s3, s31
	s_branch .LBB27_10
.LBB27_9:                               ;   in Loop: Header=BB27_10 Depth=1
	s_or_b32 exec_lo, exec_lo, s3
	v_add_co_u32 v5, vcc_lo, v5, 8
	v_add_co_ci_u32_e64 v6, null, 0, v6, vcc_lo
	v_add_co_u32 v9, s3, v9, s8
	v_add_co_ci_u32_e64 v10, null, s9, v10, s3
	v_cmp_le_i64_e32 vcc_lo, s[18:19], v[5:6]
	s_or_b32 s17, vcc_lo, s17
	s_andn2_b32 exec_lo, exec_lo, s17
	s_cbranch_execz .LBB27_26
.LBB27_10:                              ; =>This Loop Header: Depth=1
                                        ;     Child Loop BB27_14 Depth 2
                                        ;       Child Loop BB27_17 Depth 3
	v_mov_b32_e32 v13, 0
	v_mov_b32_e32 v14, 0
	s_andn2_b32 vcc_lo, exec_lo, s20
	s_cbranch_vccnz .LBB27_21
; %bb.11:                               ;   in Loop: Header=BB27_10 Depth=1
	v_mov_b32_e32 v13, 0
	s_waitcnt lgkmcnt(0)
	v_mov_b32_e32 v16, v10
	v_mov_b32_e32 v14, 0
	;; [unrolled: 1-line block ×3, first 2 shown]
	s_mov_b64 s[10:11], s[4:5]
	s_branch .LBB27_14
.LBB27_12:                              ;   in Loop: Header=BB27_14 Depth=2
	s_or_b32 exec_lo, exec_lo, s28
.LBB27_13:                              ;   in Loop: Header=BB27_14 Depth=2
	s_or_b32 exec_lo, exec_lo, s26
	s_add_u32 s10, s10, 1
	s_addc_u32 s11, s11, 0
	v_add_co_u32 v15, vcc_lo, v15, s25
	v_cmp_ge_i64_e64 s3, s[10:11], s[6:7]
	v_add_co_ci_u32_e64 v16, null, s23, v16, vcc_lo
	s_and_b32 vcc_lo, exec_lo, s3
	s_cbranch_vccnz .LBB27_21
.LBB27_14:                              ;   Parent Loop BB27_10 Depth=1
                                        ; =>  This Loop Header: Depth=2
                                        ;       Child Loop BB27_17 Depth 3
	s_and_saveexec_b32 s26, s1
	s_cbranch_execz .LBB27_13
; %bb.15:                               ;   in Loop: Header=BB27_14 Depth=2
	s_lshl_b64 s[28:29], s[10:11], 3
	s_mul_i32 s27, s10, s19
	s_add_u32 s28, s12, s28
	s_addc_u32 s29, s13, s29
	v_mov_b32_e32 v20, v8
	s_load_dwordx2 s[28:29], s[28:29], 0x0
	v_mov_b32_e32 v19, v7
	s_mul_i32 s30, s11, s18
	s_waitcnt lgkmcnt(0)
	s_sub_u32 s3, s28, s16
	s_subb_u32 s29, s29, 0
	v_mad_u64_u32 v[17:18], null, s8, s3, v[11:12]
	s_mul_i32 s3, s9, s3
	s_mul_i32 s29, s8, s29
	s_mul_hi_u32 s28, s10, s18
	s_add_i32 s27, s28, s27
	s_mov_b32 s28, 0
	v_add3_u32 v18, s29, s3, v18
	s_add_i32 s27, s27, s30
	s_mul_i32 s29, s10, s18
	s_branch .LBB27_17
.LBB27_16:                              ;   in Loop: Header=BB27_17 Depth=3
	v_lshlrev_b64 v[21:22], 3, v[21:22]
	v_add_co_u32 v21, vcc_lo, s14, v21
	v_add_co_ci_u32_e64 v22, null, s15, v22, vcc_lo
	v_add_co_u32 v19, vcc_lo, v19, 8
	v_add_co_ci_u32_e64 v20, null, 0, v20, vcc_lo
	global_load_dwordx2 v[21:22], v[21:22], off
	global_load_dwordx2 v[25:26], v[17:18], off
	v_add_co_u32 v17, s3, v17, 64
	v_cmp_le_i64_e32 vcc_lo, s[18:19], v[19:20]
	v_add_co_ci_u32_e64 v18, null, 0, v18, s3
	s_or_b32 s28, vcc_lo, s28
	s_waitcnt vmcnt(0)
	v_fma_f64 v[13:14], v[21:22], v[25:26], v[13:14]
	s_andn2_b32 exec_lo, exec_lo, s28
	s_cbranch_execz .LBB27_12
.LBB27_17:                              ;   Parent Loop BB27_10 Depth=1
                                        ;     Parent Loop BB27_14 Depth=2
                                        ; =>    This Inner Loop Header: Depth=3
	s_and_b32 vcc_lo, exec_lo, s24
	s_cbranch_vccz .LBB27_19
; %bb.18:                               ;   in Loop: Header=BB27_17 Depth=3
	v_add_co_u32 v21, vcc_lo, v19, s29
	v_add_co_ci_u32_e64 v22, null, s27, v20, vcc_lo
	v_mul_lo_u32 v25, v21, s19
	v_mul_lo_u32 v26, v22, s18
	v_mad_u64_u32 v[21:22], null, v21, s18, v[5:6]
	v_add3_u32 v22, v26, v22, v25
	s_cbranch_execnz .LBB27_16
	s_branch .LBB27_20
.LBB27_19:                              ;   in Loop: Header=BB27_17 Depth=3
                                        ; implicit-def: $vgpr21_vgpr22
.LBB27_20:                              ;   in Loop: Header=BB27_17 Depth=3
	v_add_co_u32 v21, vcc_lo, v15, v19
	v_add_co_ci_u32_e64 v22, null, v16, v20, vcc_lo
	s_branch .LBB27_16
.LBB27_21:                              ;   in Loop: Header=BB27_10 Depth=1
	s_waitcnt lgkmcnt(1)
	ds_bpermute_b32 v15, v0, v13
	s_waitcnt lgkmcnt(1)
	ds_bpermute_b32 v16, v0, v14
	s_waitcnt lgkmcnt(0)
	v_add_f64 v[13:14], v[13:14], v[15:16]
	ds_bpermute_b32 v15, v23, v13
	ds_bpermute_b32 v16, v23, v14
	s_waitcnt lgkmcnt(0)
	v_add_f64 v[13:14], v[13:14], v[15:16]
	ds_bpermute_b32 v15, v24, v13
	ds_bpermute_b32 v16, v24, v14
	s_and_saveexec_b32 s3, s2
	s_cbranch_execz .LBB27_9
; %bb.22:                               ;   in Loop: Header=BB27_10 Depth=1
	s_waitcnt lgkmcnt(0)
	v_add_f64 v[13:14], v[13:14], v[15:16]
	v_lshlrev_b64 v[15:16], 3, v[5:6]
	v_mul_f64 v[13:14], v[1:2], v[13:14]
	s_and_saveexec_b32 s10, s0
	s_xor_b32 s10, exec_lo, s10
	s_cbranch_execz .LBB27_24
; %bb.23:                               ;   in Loop: Header=BB27_10 Depth=1
	v_add_co_u32 v15, vcc_lo, s21, v15
	v_add_co_ci_u32_e64 v16, null, s22, v16, vcc_lo
	global_store_dwordx2 v[15:16], v[13:14], off
                                        ; implicit-def: $vgpr15_vgpr16
                                        ; implicit-def: $vgpr13_vgpr14
.LBB27_24:                              ;   in Loop: Header=BB27_10 Depth=1
	s_andn2_saveexec_b32 s10, s10
	s_cbranch_execz .LBB27_9
; %bb.25:                               ;   in Loop: Header=BB27_10 Depth=1
	v_add_co_u32 v15, vcc_lo, s21, v15
	v_add_co_ci_u32_e64 v16, null, s22, v16, vcc_lo
	global_load_dwordx2 v[17:18], v[15:16], off
	s_waitcnt vmcnt(0)
	v_fma_f64 v[13:14], v[3:4], v[17:18], v[13:14]
	global_store_dwordx2 v[15:16], v[13:14], off
	s_branch .LBB27_9
.LBB27_26:
	s_endpgm
	.section	.rodata,"a",@progbits
	.p2align	6, 0x0
	.amdhsa_kernel _ZN9rocsparseL22bsrxmvn_general_kernelILj64ELj8EdlldddEEv20rocsparse_direction_NS_24const_host_device_scalarIT1_EET3_PKS5_PKT2_SA_S7_PKT4_S5_PKT5_S4_PT6_21rocsparse_index_base_b
		.amdhsa_group_segment_fixed_size 0
		.amdhsa_private_segment_fixed_size 0
		.amdhsa_kernarg_size 104
		.amdhsa_user_sgpr_count 6
		.amdhsa_user_sgpr_private_segment_buffer 1
		.amdhsa_user_sgpr_dispatch_ptr 0
		.amdhsa_user_sgpr_queue_ptr 0
		.amdhsa_user_sgpr_kernarg_segment_ptr 1
		.amdhsa_user_sgpr_dispatch_id 0
		.amdhsa_user_sgpr_flat_scratch_init 0
		.amdhsa_user_sgpr_private_segment_size 0
		.amdhsa_wavefront_size32 1
		.amdhsa_uses_dynamic_stack 0
		.amdhsa_system_sgpr_private_segment_wavefront_offset 0
		.amdhsa_system_sgpr_workgroup_id_x 1
		.amdhsa_system_sgpr_workgroup_id_y 0
		.amdhsa_system_sgpr_workgroup_id_z 0
		.amdhsa_system_sgpr_workgroup_info 0
		.amdhsa_system_vgpr_workitem_id 0
		.amdhsa_next_free_vgpr 27
		.amdhsa_next_free_sgpr 34
		.amdhsa_reserve_vcc 1
		.amdhsa_reserve_flat_scratch 0
		.amdhsa_float_round_mode_32 0
		.amdhsa_float_round_mode_16_64 0
		.amdhsa_float_denorm_mode_32 3
		.amdhsa_float_denorm_mode_16_64 3
		.amdhsa_dx10_clamp 1
		.amdhsa_ieee_mode 1
		.amdhsa_fp16_overflow 0
		.amdhsa_workgroup_processor_mode 1
		.amdhsa_memory_ordered 1
		.amdhsa_forward_progress 1
		.amdhsa_shared_vgpr_count 0
		.amdhsa_exception_fp_ieee_invalid_op 0
		.amdhsa_exception_fp_denorm_src 0
		.amdhsa_exception_fp_ieee_div_zero 0
		.amdhsa_exception_fp_ieee_overflow 0
		.amdhsa_exception_fp_ieee_underflow 0
		.amdhsa_exception_fp_ieee_inexact 0
		.amdhsa_exception_int_div_zero 0
	.end_amdhsa_kernel
	.section	.text._ZN9rocsparseL22bsrxmvn_general_kernelILj64ELj8EdlldddEEv20rocsparse_direction_NS_24const_host_device_scalarIT1_EET3_PKS5_PKT2_SA_S7_PKT4_S5_PKT5_S4_PT6_21rocsparse_index_base_b,"axG",@progbits,_ZN9rocsparseL22bsrxmvn_general_kernelILj64ELj8EdlldddEEv20rocsparse_direction_NS_24const_host_device_scalarIT1_EET3_PKS5_PKT2_SA_S7_PKT4_S5_PKT5_S4_PT6_21rocsparse_index_base_b,comdat
.Lfunc_end27:
	.size	_ZN9rocsparseL22bsrxmvn_general_kernelILj64ELj8EdlldddEEv20rocsparse_direction_NS_24const_host_device_scalarIT1_EET3_PKS5_PKT2_SA_S7_PKT4_S5_PKT5_S4_PT6_21rocsparse_index_base_b, .Lfunc_end27-_ZN9rocsparseL22bsrxmvn_general_kernelILj64ELj8EdlldddEEv20rocsparse_direction_NS_24const_host_device_scalarIT1_EET3_PKS5_PKT2_SA_S7_PKT4_S5_PKT5_S4_PT6_21rocsparse_index_base_b
                                        ; -- End function
	.set _ZN9rocsparseL22bsrxmvn_general_kernelILj64ELj8EdlldddEEv20rocsparse_direction_NS_24const_host_device_scalarIT1_EET3_PKS5_PKT2_SA_S7_PKT4_S5_PKT5_S4_PT6_21rocsparse_index_base_b.num_vgpr, 27
	.set _ZN9rocsparseL22bsrxmvn_general_kernelILj64ELj8EdlldddEEv20rocsparse_direction_NS_24const_host_device_scalarIT1_EET3_PKS5_PKT2_SA_S7_PKT4_S5_PKT5_S4_PT6_21rocsparse_index_base_b.num_agpr, 0
	.set _ZN9rocsparseL22bsrxmvn_general_kernelILj64ELj8EdlldddEEv20rocsparse_direction_NS_24const_host_device_scalarIT1_EET3_PKS5_PKT2_SA_S7_PKT4_S5_PKT5_S4_PT6_21rocsparse_index_base_b.numbered_sgpr, 34
	.set _ZN9rocsparseL22bsrxmvn_general_kernelILj64ELj8EdlldddEEv20rocsparse_direction_NS_24const_host_device_scalarIT1_EET3_PKS5_PKT2_SA_S7_PKT4_S5_PKT5_S4_PT6_21rocsparse_index_base_b.num_named_barrier, 0
	.set _ZN9rocsparseL22bsrxmvn_general_kernelILj64ELj8EdlldddEEv20rocsparse_direction_NS_24const_host_device_scalarIT1_EET3_PKS5_PKT2_SA_S7_PKT4_S5_PKT5_S4_PT6_21rocsparse_index_base_b.private_seg_size, 0
	.set _ZN9rocsparseL22bsrxmvn_general_kernelILj64ELj8EdlldddEEv20rocsparse_direction_NS_24const_host_device_scalarIT1_EET3_PKS5_PKT2_SA_S7_PKT4_S5_PKT5_S4_PT6_21rocsparse_index_base_b.uses_vcc, 1
	.set _ZN9rocsparseL22bsrxmvn_general_kernelILj64ELj8EdlldddEEv20rocsparse_direction_NS_24const_host_device_scalarIT1_EET3_PKS5_PKT2_SA_S7_PKT4_S5_PKT5_S4_PT6_21rocsparse_index_base_b.uses_flat_scratch, 0
	.set _ZN9rocsparseL22bsrxmvn_general_kernelILj64ELj8EdlldddEEv20rocsparse_direction_NS_24const_host_device_scalarIT1_EET3_PKS5_PKT2_SA_S7_PKT4_S5_PKT5_S4_PT6_21rocsparse_index_base_b.has_dyn_sized_stack, 0
	.set _ZN9rocsparseL22bsrxmvn_general_kernelILj64ELj8EdlldddEEv20rocsparse_direction_NS_24const_host_device_scalarIT1_EET3_PKS5_PKT2_SA_S7_PKT4_S5_PKT5_S4_PT6_21rocsparse_index_base_b.has_recursion, 0
	.set _ZN9rocsparseL22bsrxmvn_general_kernelILj64ELj8EdlldddEEv20rocsparse_direction_NS_24const_host_device_scalarIT1_EET3_PKS5_PKT2_SA_S7_PKT4_S5_PKT5_S4_PT6_21rocsparse_index_base_b.has_indirect_call, 0
	.section	.AMDGPU.csdata,"",@progbits
; Kernel info:
; codeLenInByte = 1236
; TotalNumSgprs: 36
; NumVgprs: 27
; ScratchSize: 0
; MemoryBound: 0
; FloatMode: 240
; IeeeMode: 1
; LDSByteSize: 0 bytes/workgroup (compile time only)
; SGPRBlocks: 0
; VGPRBlocks: 3
; NumSGPRsForWavesPerEU: 36
; NumVGPRsForWavesPerEU: 27
; Occupancy: 16
; WaveLimiterHint : 1
; COMPUTE_PGM_RSRC2:SCRATCH_EN: 0
; COMPUTE_PGM_RSRC2:USER_SGPR: 6
; COMPUTE_PGM_RSRC2:TRAP_HANDLER: 0
; COMPUTE_PGM_RSRC2:TGID_X_EN: 1
; COMPUTE_PGM_RSRC2:TGID_Y_EN: 0
; COMPUTE_PGM_RSRC2:TGID_Z_EN: 0
; COMPUTE_PGM_RSRC2:TIDIG_COMP_CNT: 0
	.section	.text._ZN9rocsparseL22bsrxmvn_general_kernelILj256ELj16EdlldddEEv20rocsparse_direction_NS_24const_host_device_scalarIT1_EET3_PKS5_PKT2_SA_S7_PKT4_S5_PKT5_S4_PT6_21rocsparse_index_base_b,"axG",@progbits,_ZN9rocsparseL22bsrxmvn_general_kernelILj256ELj16EdlldddEEv20rocsparse_direction_NS_24const_host_device_scalarIT1_EET3_PKS5_PKT2_SA_S7_PKT4_S5_PKT5_S4_PT6_21rocsparse_index_base_b,comdat
	.globl	_ZN9rocsparseL22bsrxmvn_general_kernelILj256ELj16EdlldddEEv20rocsparse_direction_NS_24const_host_device_scalarIT1_EET3_PKS5_PKT2_SA_S7_PKT4_S5_PKT5_S4_PT6_21rocsparse_index_base_b ; -- Begin function _ZN9rocsparseL22bsrxmvn_general_kernelILj256ELj16EdlldddEEv20rocsparse_direction_NS_24const_host_device_scalarIT1_EET3_PKS5_PKT2_SA_S7_PKT4_S5_PKT5_S4_PT6_21rocsparse_index_base_b
	.p2align	8
	.type	_ZN9rocsparseL22bsrxmvn_general_kernelILj256ELj16EdlldddEEv20rocsparse_direction_NS_24const_host_device_scalarIT1_EET3_PKS5_PKT2_SA_S7_PKT4_S5_PKT5_S4_PT6_21rocsparse_index_base_b,@function
_ZN9rocsparseL22bsrxmvn_general_kernelILj256ELj16EdlldddEEv20rocsparse_direction_NS_24const_host_device_scalarIT1_EET3_PKS5_PKT2_SA_S7_PKT4_S5_PKT5_S4_PT6_21rocsparse_index_base_b: ; @_ZN9rocsparseL22bsrxmvn_general_kernelILj256ELj16EdlldddEEv20rocsparse_direction_NS_24const_host_device_scalarIT1_EET3_PKS5_PKT2_SA_S7_PKT4_S5_PKT5_S4_PT6_21rocsparse_index_base_b
; %bb.0:
	s_clause 0x2
	s_load_dwordx2 s[16:17], s[4:5], 0x60
	s_load_dwordx2 s[2:3], s[4:5], 0x8
	;; [unrolled: 1-line block ×3, first 2 shown]
	s_waitcnt lgkmcnt(0)
	s_bitcmp1_b32 s17, 0
	v_mov_b32_e32 v1, s2
	v_mov_b32_e32 v2, s3
	s_cselect_b32 s7, -1, 0
	s_and_b32 vcc_lo, exec_lo, s7
	s_xor_b32 s7, s7, -1
	s_cbranch_vccnz .LBB28_2
; %bb.1:
	v_mov_b32_e32 v1, s2
	v_mov_b32_e32 v2, s3
	flat_load_dwordx2 v[1:2], v[1:2]
.LBB28_2:
	v_mov_b32_e32 v4, s1
	v_mov_b32_e32 v3, s0
	s_andn2_b32 vcc_lo, exec_lo, s7
	s_cbranch_vccnz .LBB28_4
; %bb.3:
	v_mov_b32_e32 v4, s1
	v_mov_b32_e32 v3, s0
	flat_load_dwordx2 v[3:4], v[3:4]
.LBB28_4:
	s_waitcnt vmcnt(0) lgkmcnt(0)
	v_cmp_neq_f64_e32 vcc_lo, 0, v[1:2]
	v_cmp_neq_f64_e64 s0, 1.0, v[3:4]
	s_or_b32 s0, vcc_lo, s0
	s_and_saveexec_b32 s1, s0
	s_cbranch_execz .LBB28_26
; %bb.5:
	s_load_dwordx2 s[0:1], s[4:5], 0x18
	s_mov_b32 s7, 0
	s_waitcnt lgkmcnt(0)
	s_cmp_eq_u64 s[0:1], 0
	s_cbranch_scc1 .LBB28_7
; %bb.6:
	s_lshl_b64 s[2:3], s[6:7], 3
	s_add_u32 s0, s0, s2
	s_addc_u32 s1, s1, s3
	s_load_dwordx2 s[0:1], s[0:1], 0x0
	s_waitcnt lgkmcnt(0)
	s_sub_u32 s6, s0, s16
	s_subb_u32 s7, s1, 0
.LBB28_7:
	s_load_dwordx2 s[18:19], s[4:5], 0x40
	v_lshrrev_b32_e32 v5, 4, v0
	v_mov_b32_e32 v6, 0
	s_waitcnt lgkmcnt(0)
	v_cmp_gt_i64_e32 vcc_lo, s[18:19], v[5:6]
	s_and_b32 exec_lo, exec_lo, vcc_lo
	s_cbranch_execz .LBB28_26
; %bb.8:
	s_load_dwordx8 s[8:15], s[4:5], 0x20
	s_lshl_b64 s[2:3], s[6:7], 3
	v_and_b32_e32 v7, 15, v0
	v_mbcnt_lo_u32_b32 v0, -1, 0
	s_load_dword s27, s[4:5], 0x0
	s_mul_i32 s28, s6, s19
	s_mul_hi_u32 s29, s6, s18
	s_mul_i32 s26, s6, s18
	v_xor_b32_e32 v9, 8, v0
	s_mul_i32 s30, s7, s18
	v_xor_b32_e32 v10, 4, v0
	v_xor_b32_e32 v11, 2, v0
	;; [unrolled: 1-line block ×3, first 2 shown]
	v_cmp_gt_i32_e32 vcc_lo, 32, v9
	v_cmp_eq_f64_e64 s0, 0, v[3:4]
	v_lshlrev_b32_e32 v13, 3, v7
	v_mov_b32_e32 v8, v6
	s_mul_i32 s31, s18, s19
	v_cndmask_b32_e32 v14, v0, v9, vcc_lo
	v_cmp_gt_i32_e32 vcc_lo, 32, v10
	s_waitcnt lgkmcnt(0)
	s_add_u32 s24, s8, s2
	s_addc_u32 s25, s9, s3
	s_mul_hi_u32 s33, s18, s18
	s_load_dwordx2 s[20:21], s[24:25], 0x0
	s_clause 0x1
	s_load_dwordx2 s[8:9], s[4:5], 0x58
	s_load_dwordx2 s[22:23], s[4:5], 0x48
	v_cndmask_b32_e32 v15, v0, v10, vcc_lo
	v_cmp_gt_i32_e32 vcc_lo, 32, v11
	v_cmp_gt_u64_e64 s1, s[18:19], v[7:8]
	s_mov_b32 s17, 0
	v_lshlrev_b32_e32 v23, 2, v15
	v_cndmask_b32_e32 v11, v0, v11, vcc_lo
	v_cmp_gt_i32_e32 vcc_lo, 32, v12
	v_lshlrev_b32_e32 v24, 2, v11
	v_cndmask_b32_e32 v12, v0, v12, vcc_lo
	v_lshlrev_b32_e32 v0, 2, v14
	v_lshlrev_b32_e32 v25, 2, v12
	s_waitcnt lgkmcnt(0)
	s_sub_u32 s4, s20, s16
	s_subb_u32 s5, s21, 0
	s_add_u32 s6, s24, 8
	s_addc_u32 s7, s25, 0
	s_add_u32 s24, s10, s2
	s_addc_u32 s3, s11, s3
	s_cmp_eq_u64 s[10:11], 0
	v_mad_u64_u32 v[9:10], null, s18, s4, v[5:6]
	s_cselect_b32 s7, s7, s3
	s_cselect_b32 s6, s6, s24
	s_mul_i32 s3, s19, s4
	s_load_dwordx2 s[10:11], s[6:7], 0x0
	s_mul_i32 s6, s18, s5
	v_cmp_eq_u32_e64 s2, 15, v7
	v_add3_u32 v11, s6, s3, v10
	v_mul_lo_u32 v14, s19, v9
	v_mad_u64_u32 v[9:10], null, s18, v9, 0
	v_mul_lo_u32 v15, s18, v11
	v_add_co_u32 v11, s22, s22, v13
	v_add_co_ci_u32_e64 v12, null, s23, 0, s22
	v_add3_u32 v10, v10, v15, v14
	s_waitcnt lgkmcnt(0)
	s_sub_u32 s6, s10, s16
	s_subb_u32 s7, s11, 0
	s_cmp_lg_u32 s27, 0
	v_cmp_lt_i64_e64 s22, s[20:21], s[10:11]
	s_cselect_b32 s24, -1, 0
	s_add_i32 s3, s29, s28
	s_add_i32 s27, s3, s30
	s_lshl_b64 s[26:27], s[26:27], 3
	s_add_u32 s23, s8, s26
	s_addc_u32 s25, s9, s27
	s_add_i32 s3, s33, s31
	s_lshl_b64 s[8:9], s[18:19], 3
	s_lshl_b64 s[10:11], s[18:19], 4
	s_add_i32 s26, s3, s31
	s_mul_i32 s27, s18, s18
	s_branch .LBB28_10
.LBB28_9:                               ;   in Loop: Header=BB28_10 Depth=1
	s_or_b32 exec_lo, exec_lo, s3
	v_add_co_u32 v5, vcc_lo, v5, 16
	v_add_co_ci_u32_e64 v6, null, 0, v6, vcc_lo
	v_add_co_u32 v9, s3, v9, s10
	v_add_co_ci_u32_e64 v10, null, s11, v10, s3
	v_cmp_le_i64_e32 vcc_lo, s[18:19], v[5:6]
	s_or_b32 s17, vcc_lo, s17
	s_andn2_b32 exec_lo, exec_lo, s17
	s_cbranch_execz .LBB28_26
.LBB28_10:                              ; =>This Loop Header: Depth=1
                                        ;     Child Loop BB28_14 Depth 2
                                        ;       Child Loop BB28_17 Depth 3
	v_mov_b32_e32 v13, 0
	v_mov_b32_e32 v14, 0
	s_andn2_b32 vcc_lo, exec_lo, s22
	s_cbranch_vccnz .LBB28_21
; %bb.11:                               ;   in Loop: Header=BB28_10 Depth=1
	v_mov_b32_e32 v13, 0
	s_waitcnt lgkmcnt(0)
	v_mov_b32_e32 v16, v10
	v_mov_b32_e32 v14, 0
	;; [unrolled: 1-line block ×3, first 2 shown]
	s_mov_b64 s[20:21], s[4:5]
	s_branch .LBB28_14
.LBB28_12:                              ;   in Loop: Header=BB28_14 Depth=2
	s_or_b32 exec_lo, exec_lo, s30
.LBB28_13:                              ;   in Loop: Header=BB28_14 Depth=2
	s_or_b32 exec_lo, exec_lo, s28
	s_add_u32 s20, s20, 1
	s_addc_u32 s21, s21, 0
	v_add_co_u32 v15, vcc_lo, v15, s27
	v_cmp_ge_i64_e64 s3, s[20:21], s[6:7]
	v_add_co_ci_u32_e64 v16, null, s26, v16, vcc_lo
	s_and_b32 vcc_lo, exec_lo, s3
	s_cbranch_vccnz .LBB28_21
.LBB28_14:                              ;   Parent Loop BB28_10 Depth=1
                                        ; =>  This Loop Header: Depth=2
                                        ;       Child Loop BB28_17 Depth 3
	s_and_saveexec_b32 s28, s1
	s_cbranch_execz .LBB28_13
; %bb.15:                               ;   in Loop: Header=BB28_14 Depth=2
	s_lshl_b64 s[30:31], s[20:21], 3
	s_mul_i32 s29, s20, s19
	s_add_u32 s30, s12, s30
	s_addc_u32 s31, s13, s31
	v_mov_b32_e32 v20, v8
	s_load_dwordx2 s[30:31], s[30:31], 0x0
	v_mov_b32_e32 v19, v7
	s_mul_i32 s33, s21, s18
	s_waitcnt lgkmcnt(0)
	s_sub_u32 s3, s30, s16
	s_subb_u32 s31, s31, 0
	v_mad_u64_u32 v[17:18], null, s8, s3, v[11:12]
	s_mul_i32 s3, s9, s3
	s_mul_i32 s31, s8, s31
	s_mul_hi_u32 s30, s20, s18
	s_add_i32 s29, s30, s29
	s_mov_b32 s30, 0
	v_add3_u32 v18, s31, s3, v18
	s_add_i32 s29, s29, s33
	s_mul_i32 s31, s20, s18
	s_branch .LBB28_17
.LBB28_16:                              ;   in Loop: Header=BB28_17 Depth=3
	v_lshlrev_b64 v[21:22], 3, v[21:22]
	v_add_co_u32 v21, vcc_lo, s14, v21
	v_add_co_ci_u32_e64 v22, null, s15, v22, vcc_lo
	v_add_co_u32 v19, vcc_lo, v19, 16
	v_add_co_ci_u32_e64 v20, null, 0, v20, vcc_lo
	global_load_dwordx2 v[21:22], v[21:22], off
	global_load_dwordx2 v[26:27], v[17:18], off
	v_add_co_u32 v17, s3, 0x80, v17
	v_cmp_le_i64_e32 vcc_lo, s[18:19], v[19:20]
	v_add_co_ci_u32_e64 v18, null, 0, v18, s3
	s_or_b32 s30, vcc_lo, s30
	s_waitcnt vmcnt(0)
	v_fma_f64 v[13:14], v[21:22], v[26:27], v[13:14]
	s_andn2_b32 exec_lo, exec_lo, s30
	s_cbranch_execz .LBB28_12
.LBB28_17:                              ;   Parent Loop BB28_10 Depth=1
                                        ;     Parent Loop BB28_14 Depth=2
                                        ; =>    This Inner Loop Header: Depth=3
	s_and_b32 vcc_lo, exec_lo, s24
	s_cbranch_vccz .LBB28_19
; %bb.18:                               ;   in Loop: Header=BB28_17 Depth=3
	v_add_co_u32 v21, vcc_lo, v19, s31
	v_add_co_ci_u32_e64 v22, null, s29, v20, vcc_lo
	v_mul_lo_u32 v26, v21, s19
	v_mul_lo_u32 v27, v22, s18
	v_mad_u64_u32 v[21:22], null, v21, s18, v[5:6]
	v_add3_u32 v22, v27, v22, v26
	s_cbranch_execnz .LBB28_16
	s_branch .LBB28_20
.LBB28_19:                              ;   in Loop: Header=BB28_17 Depth=3
                                        ; implicit-def: $vgpr21_vgpr22
.LBB28_20:                              ;   in Loop: Header=BB28_17 Depth=3
	v_add_co_u32 v21, vcc_lo, v15, v19
	v_add_co_ci_u32_e64 v22, null, v16, v20, vcc_lo
	s_branch .LBB28_16
.LBB28_21:                              ;   in Loop: Header=BB28_10 Depth=1
	s_waitcnt lgkmcnt(1)
	ds_bpermute_b32 v15, v0, v13
	s_waitcnt lgkmcnt(1)
	ds_bpermute_b32 v16, v0, v14
	s_waitcnt lgkmcnt(0)
	v_add_f64 v[13:14], v[13:14], v[15:16]
	ds_bpermute_b32 v15, v23, v13
	ds_bpermute_b32 v16, v23, v14
	s_waitcnt lgkmcnt(0)
	v_add_f64 v[13:14], v[13:14], v[15:16]
	ds_bpermute_b32 v15, v24, v13
	;; [unrolled: 4-line block ×3, first 2 shown]
	ds_bpermute_b32 v16, v25, v14
	s_and_saveexec_b32 s3, s2
	s_cbranch_execz .LBB28_9
; %bb.22:                               ;   in Loop: Header=BB28_10 Depth=1
	s_waitcnt lgkmcnt(0)
	v_add_f64 v[13:14], v[13:14], v[15:16]
	v_lshlrev_b64 v[15:16], 3, v[5:6]
	v_mul_f64 v[13:14], v[1:2], v[13:14]
	s_and_saveexec_b32 s20, s0
	s_xor_b32 s20, exec_lo, s20
	s_cbranch_execz .LBB28_24
; %bb.23:                               ;   in Loop: Header=BB28_10 Depth=1
	v_add_co_u32 v15, vcc_lo, s23, v15
	v_add_co_ci_u32_e64 v16, null, s25, v16, vcc_lo
	global_store_dwordx2 v[15:16], v[13:14], off
                                        ; implicit-def: $vgpr15_vgpr16
                                        ; implicit-def: $vgpr13_vgpr14
.LBB28_24:                              ;   in Loop: Header=BB28_10 Depth=1
	s_andn2_saveexec_b32 s20, s20
	s_cbranch_execz .LBB28_9
; %bb.25:                               ;   in Loop: Header=BB28_10 Depth=1
	v_add_co_u32 v15, vcc_lo, s23, v15
	v_add_co_ci_u32_e64 v16, null, s25, v16, vcc_lo
	global_load_dwordx2 v[17:18], v[15:16], off
	s_waitcnt vmcnt(0)
	v_fma_f64 v[13:14], v[3:4], v[17:18], v[13:14]
	global_store_dwordx2 v[15:16], v[13:14], off
	s_branch .LBB28_9
.LBB28_26:
	s_endpgm
	.section	.rodata,"a",@progbits
	.p2align	6, 0x0
	.amdhsa_kernel _ZN9rocsparseL22bsrxmvn_general_kernelILj256ELj16EdlldddEEv20rocsparse_direction_NS_24const_host_device_scalarIT1_EET3_PKS5_PKT2_SA_S7_PKT4_S5_PKT5_S4_PT6_21rocsparse_index_base_b
		.amdhsa_group_segment_fixed_size 0
		.amdhsa_private_segment_fixed_size 0
		.amdhsa_kernarg_size 104
		.amdhsa_user_sgpr_count 6
		.amdhsa_user_sgpr_private_segment_buffer 1
		.amdhsa_user_sgpr_dispatch_ptr 0
		.amdhsa_user_sgpr_queue_ptr 0
		.amdhsa_user_sgpr_kernarg_segment_ptr 1
		.amdhsa_user_sgpr_dispatch_id 0
		.amdhsa_user_sgpr_flat_scratch_init 0
		.amdhsa_user_sgpr_private_segment_size 0
		.amdhsa_wavefront_size32 1
		.amdhsa_uses_dynamic_stack 0
		.amdhsa_system_sgpr_private_segment_wavefront_offset 0
		.amdhsa_system_sgpr_workgroup_id_x 1
		.amdhsa_system_sgpr_workgroup_id_y 0
		.amdhsa_system_sgpr_workgroup_id_z 0
		.amdhsa_system_sgpr_workgroup_info 0
		.amdhsa_system_vgpr_workitem_id 0
		.amdhsa_next_free_vgpr 28
		.amdhsa_next_free_sgpr 34
		.amdhsa_reserve_vcc 1
		.amdhsa_reserve_flat_scratch 0
		.amdhsa_float_round_mode_32 0
		.amdhsa_float_round_mode_16_64 0
		.amdhsa_float_denorm_mode_32 3
		.amdhsa_float_denorm_mode_16_64 3
		.amdhsa_dx10_clamp 1
		.amdhsa_ieee_mode 1
		.amdhsa_fp16_overflow 0
		.amdhsa_workgroup_processor_mode 1
		.amdhsa_memory_ordered 1
		.amdhsa_forward_progress 1
		.amdhsa_shared_vgpr_count 0
		.amdhsa_exception_fp_ieee_invalid_op 0
		.amdhsa_exception_fp_denorm_src 0
		.amdhsa_exception_fp_ieee_div_zero 0
		.amdhsa_exception_fp_ieee_overflow 0
		.amdhsa_exception_fp_ieee_underflow 0
		.amdhsa_exception_fp_ieee_inexact 0
		.amdhsa_exception_int_div_zero 0
	.end_amdhsa_kernel
	.section	.text._ZN9rocsparseL22bsrxmvn_general_kernelILj256ELj16EdlldddEEv20rocsparse_direction_NS_24const_host_device_scalarIT1_EET3_PKS5_PKT2_SA_S7_PKT4_S5_PKT5_S4_PT6_21rocsparse_index_base_b,"axG",@progbits,_ZN9rocsparseL22bsrxmvn_general_kernelILj256ELj16EdlldddEEv20rocsparse_direction_NS_24const_host_device_scalarIT1_EET3_PKS5_PKT2_SA_S7_PKT4_S5_PKT5_S4_PT6_21rocsparse_index_base_b,comdat
.Lfunc_end28:
	.size	_ZN9rocsparseL22bsrxmvn_general_kernelILj256ELj16EdlldddEEv20rocsparse_direction_NS_24const_host_device_scalarIT1_EET3_PKS5_PKT2_SA_S7_PKT4_S5_PKT5_S4_PT6_21rocsparse_index_base_b, .Lfunc_end28-_ZN9rocsparseL22bsrxmvn_general_kernelILj256ELj16EdlldddEEv20rocsparse_direction_NS_24const_host_device_scalarIT1_EET3_PKS5_PKT2_SA_S7_PKT4_S5_PKT5_S4_PT6_21rocsparse_index_base_b
                                        ; -- End function
	.set _ZN9rocsparseL22bsrxmvn_general_kernelILj256ELj16EdlldddEEv20rocsparse_direction_NS_24const_host_device_scalarIT1_EET3_PKS5_PKT2_SA_S7_PKT4_S5_PKT5_S4_PT6_21rocsparse_index_base_b.num_vgpr, 28
	.set _ZN9rocsparseL22bsrxmvn_general_kernelILj256ELj16EdlldddEEv20rocsparse_direction_NS_24const_host_device_scalarIT1_EET3_PKS5_PKT2_SA_S7_PKT4_S5_PKT5_S4_PT6_21rocsparse_index_base_b.num_agpr, 0
	.set _ZN9rocsparseL22bsrxmvn_general_kernelILj256ELj16EdlldddEEv20rocsparse_direction_NS_24const_host_device_scalarIT1_EET3_PKS5_PKT2_SA_S7_PKT4_S5_PKT5_S4_PT6_21rocsparse_index_base_b.numbered_sgpr, 34
	.set _ZN9rocsparseL22bsrxmvn_general_kernelILj256ELj16EdlldddEEv20rocsparse_direction_NS_24const_host_device_scalarIT1_EET3_PKS5_PKT2_SA_S7_PKT4_S5_PKT5_S4_PT6_21rocsparse_index_base_b.num_named_barrier, 0
	.set _ZN9rocsparseL22bsrxmvn_general_kernelILj256ELj16EdlldddEEv20rocsparse_direction_NS_24const_host_device_scalarIT1_EET3_PKS5_PKT2_SA_S7_PKT4_S5_PKT5_S4_PT6_21rocsparse_index_base_b.private_seg_size, 0
	.set _ZN9rocsparseL22bsrxmvn_general_kernelILj256ELj16EdlldddEEv20rocsparse_direction_NS_24const_host_device_scalarIT1_EET3_PKS5_PKT2_SA_S7_PKT4_S5_PKT5_S4_PT6_21rocsparse_index_base_b.uses_vcc, 1
	.set _ZN9rocsparseL22bsrxmvn_general_kernelILj256ELj16EdlldddEEv20rocsparse_direction_NS_24const_host_device_scalarIT1_EET3_PKS5_PKT2_SA_S7_PKT4_S5_PKT5_S4_PT6_21rocsparse_index_base_b.uses_flat_scratch, 0
	.set _ZN9rocsparseL22bsrxmvn_general_kernelILj256ELj16EdlldddEEv20rocsparse_direction_NS_24const_host_device_scalarIT1_EET3_PKS5_PKT2_SA_S7_PKT4_S5_PKT5_S4_PT6_21rocsparse_index_base_b.has_dyn_sized_stack, 0
	.set _ZN9rocsparseL22bsrxmvn_general_kernelILj256ELj16EdlldddEEv20rocsparse_direction_NS_24const_host_device_scalarIT1_EET3_PKS5_PKT2_SA_S7_PKT4_S5_PKT5_S4_PT6_21rocsparse_index_base_b.has_recursion, 0
	.set _ZN9rocsparseL22bsrxmvn_general_kernelILj256ELj16EdlldddEEv20rocsparse_direction_NS_24const_host_device_scalarIT1_EET3_PKS5_PKT2_SA_S7_PKT4_S5_PKT5_S4_PT6_21rocsparse_index_base_b.has_indirect_call, 0
	.section	.AMDGPU.csdata,"",@progbits
; Kernel info:
; codeLenInByte = 1288
; TotalNumSgprs: 36
; NumVgprs: 28
; ScratchSize: 0
; MemoryBound: 0
; FloatMode: 240
; IeeeMode: 1
; LDSByteSize: 0 bytes/workgroup (compile time only)
; SGPRBlocks: 0
; VGPRBlocks: 3
; NumSGPRsForWavesPerEU: 36
; NumVGPRsForWavesPerEU: 28
; Occupancy: 16
; WaveLimiterHint : 1
; COMPUTE_PGM_RSRC2:SCRATCH_EN: 0
; COMPUTE_PGM_RSRC2:USER_SGPR: 6
; COMPUTE_PGM_RSRC2:TRAP_HANDLER: 0
; COMPUTE_PGM_RSRC2:TGID_X_EN: 1
; COMPUTE_PGM_RSRC2:TGID_Y_EN: 0
; COMPUTE_PGM_RSRC2:TGID_Z_EN: 0
; COMPUTE_PGM_RSRC2:TIDIG_COMP_CNT: 0
	.section	.text._ZN9rocsparseL22bsrxmvn_general_kernelILj1024ELj32EdlldddEEv20rocsparse_direction_NS_24const_host_device_scalarIT1_EET3_PKS5_PKT2_SA_S7_PKT4_S5_PKT5_S4_PT6_21rocsparse_index_base_b,"axG",@progbits,_ZN9rocsparseL22bsrxmvn_general_kernelILj1024ELj32EdlldddEEv20rocsparse_direction_NS_24const_host_device_scalarIT1_EET3_PKS5_PKT2_SA_S7_PKT4_S5_PKT5_S4_PT6_21rocsparse_index_base_b,comdat
	.globl	_ZN9rocsparseL22bsrxmvn_general_kernelILj1024ELj32EdlldddEEv20rocsparse_direction_NS_24const_host_device_scalarIT1_EET3_PKS5_PKT2_SA_S7_PKT4_S5_PKT5_S4_PT6_21rocsparse_index_base_b ; -- Begin function _ZN9rocsparseL22bsrxmvn_general_kernelILj1024ELj32EdlldddEEv20rocsparse_direction_NS_24const_host_device_scalarIT1_EET3_PKS5_PKT2_SA_S7_PKT4_S5_PKT5_S4_PT6_21rocsparse_index_base_b
	.p2align	8
	.type	_ZN9rocsparseL22bsrxmvn_general_kernelILj1024ELj32EdlldddEEv20rocsparse_direction_NS_24const_host_device_scalarIT1_EET3_PKS5_PKT2_SA_S7_PKT4_S5_PKT5_S4_PT6_21rocsparse_index_base_b,@function
_ZN9rocsparseL22bsrxmvn_general_kernelILj1024ELj32EdlldddEEv20rocsparse_direction_NS_24const_host_device_scalarIT1_EET3_PKS5_PKT2_SA_S7_PKT4_S5_PKT5_S4_PT6_21rocsparse_index_base_b: ; @_ZN9rocsparseL22bsrxmvn_general_kernelILj1024ELj32EdlldddEEv20rocsparse_direction_NS_24const_host_device_scalarIT1_EET3_PKS5_PKT2_SA_S7_PKT4_S5_PKT5_S4_PT6_21rocsparse_index_base_b
; %bb.0:
	s_clause 0x2
	s_load_dwordx2 s[16:17], s[4:5], 0x60
	s_load_dwordx2 s[2:3], s[4:5], 0x8
	;; [unrolled: 1-line block ×3, first 2 shown]
	s_waitcnt lgkmcnt(0)
	s_bitcmp1_b32 s17, 0
	v_mov_b32_e32 v1, s2
	v_mov_b32_e32 v2, s3
	s_cselect_b32 s7, -1, 0
	s_and_b32 vcc_lo, exec_lo, s7
	s_xor_b32 s7, s7, -1
	s_cbranch_vccnz .LBB29_2
; %bb.1:
	v_mov_b32_e32 v1, s2
	v_mov_b32_e32 v2, s3
	flat_load_dwordx2 v[1:2], v[1:2]
.LBB29_2:
	v_mov_b32_e32 v4, s1
	v_mov_b32_e32 v3, s0
	s_andn2_b32 vcc_lo, exec_lo, s7
	s_cbranch_vccnz .LBB29_4
; %bb.3:
	v_mov_b32_e32 v4, s1
	v_mov_b32_e32 v3, s0
	flat_load_dwordx2 v[3:4], v[3:4]
.LBB29_4:
	s_waitcnt vmcnt(0) lgkmcnt(0)
	v_cmp_neq_f64_e32 vcc_lo, 0, v[1:2]
	v_cmp_neq_f64_e64 s0, 1.0, v[3:4]
	s_or_b32 s0, vcc_lo, s0
	s_and_saveexec_b32 s1, s0
	s_cbranch_execz .LBB29_26
; %bb.5:
	s_load_dwordx2 s[0:1], s[4:5], 0x18
	s_mov_b32 s7, 0
	s_waitcnt lgkmcnt(0)
	s_cmp_eq_u64 s[0:1], 0
	s_cbranch_scc1 .LBB29_7
; %bb.6:
	s_lshl_b64 s[2:3], s[6:7], 3
	s_add_u32 s0, s0, s2
	s_addc_u32 s1, s1, s3
	s_load_dwordx2 s[0:1], s[0:1], 0x0
	s_waitcnt lgkmcnt(0)
	s_sub_u32 s6, s0, s16
	s_subb_u32 s7, s1, 0
.LBB29_7:
	s_load_dwordx2 s[18:19], s[4:5], 0x40
	v_lshrrev_b32_e32 v5, 5, v0
	v_mov_b32_e32 v6, 0
	s_waitcnt lgkmcnt(0)
	v_cmp_gt_i64_e32 vcc_lo, s[18:19], v[5:6]
	s_and_b32 exec_lo, exec_lo, vcc_lo
	s_cbranch_execz .LBB29_26
; %bb.8:
	s_load_dwordx8 s[8:15], s[4:5], 0x20
	s_lshl_b64 s[24:25], s[6:7], 3
	s_clause 0x1
	s_load_dwordx2 s[20:21], s[4:5], 0x58
	s_load_dwordx2 s[22:23], s[4:5], 0x48
	v_and_b32_e32 v7, 31, v0
	v_mbcnt_lo_u32_b32 v0, -1, 0
	s_load_dword s3, s[4:5], 0x0
	s_mul_i32 s29, s6, s19
	s_mul_hi_u32 s30, s6, s18
	s_mul_i32 s28, s6, s18
	v_xor_b32_e32 v9, 16, v0
	v_xor_b32_e32 v10, 8, v0
	s_mul_i32 s31, s7, s18
	v_xor_b32_e32 v11, 4, v0
	v_xor_b32_e32 v12, 2, v0
	v_cmp_gt_i32_e32 vcc_lo, 32, v9
	v_xor_b32_e32 v13, 1, v0
	v_cmp_eq_f64_e64 s0, 0, v[3:4]
	v_lshlrev_b32_e32 v14, 3, v7
	v_mov_b32_e32 v8, v6
	v_cndmask_b32_e32 v15, v0, v9, vcc_lo
	s_waitcnt lgkmcnt(0)
	s_add_u32 s26, s8, s24
	s_addc_u32 s27, s9, s25
	v_cmp_gt_i32_e32 vcc_lo, 32, v10
	s_load_dwordx2 s[8:9], s[26:27], 0x0
	s_mul_i32 s33, s18, s19
	s_mul_hi_u32 s34, s18, s18
	v_cmp_gt_u64_e64 s1, s[18:19], v[7:8]
	v_cndmask_b32_e32 v16, v0, v10, vcc_lo
	v_cmp_gt_i32_e32 vcc_lo, 32, v11
	v_cmp_eq_u32_e64 s2, 31, v7
	s_mov_b32 s17, 0
	v_lshlrev_b32_e32 v23, 2, v16
	v_cndmask_b32_e32 v11, v0, v11, vcc_lo
	v_cmp_gt_i32_e32 vcc_lo, 32, v12
	v_lshlrev_b32_e32 v24, 2, v11
	v_cndmask_b32_e32 v12, v0, v12, vcc_lo
	v_cmp_gt_i32_e32 vcc_lo, 32, v13
	s_waitcnt lgkmcnt(0)
	s_sub_u32 s4, s8, s16
	s_subb_u32 s5, s9, 0
	s_add_u32 s6, s26, 8
	s_addc_u32 s7, s27, 0
	s_add_u32 s24, s10, s24
	s_addc_u32 s25, s11, s25
	s_cmp_eq_u64 s[10:11], 0
	v_mad_u64_u32 v[9:10], null, s18, s4, v[5:6]
	s_cselect_b32 s7, s7, s25
	s_cselect_b32 s6, s6, s24
	v_cndmask_b32_e32 v13, v0, v13, vcc_lo
	s_load_dwordx2 s[10:11], s[6:7], 0x0
	s_mul_i32 s6, s19, s4
	s_mul_i32 s7, s18, s5
	v_lshlrev_b32_e32 v0, 2, v15
	v_add3_u32 v11, s7, s6, v10
	v_lshlrev_b32_e32 v26, 2, v13
	v_mul_lo_u32 v13, s19, v9
	v_mad_u64_u32 v[9:10], null, s18, v9, 0
	v_mul_lo_u32 v15, s18, v11
	v_add_co_u32 v11, s22, s22, v14
	v_lshlrev_b32_e32 v25, 2, v12
	v_add_co_ci_u32_e64 v12, null, s23, 0, s22
	v_add3_u32 v10, v10, v15, v13
	s_waitcnt lgkmcnt(0)
	s_sub_u32 s6, s10, s16
	s_subb_u32 s7, s11, 0
	s_cmp_lg_u32 s3, 0
	v_cmp_lt_i64_e64 s22, s[8:9], s[10:11]
	s_cselect_b32 s24, -1, 0
	s_add_i32 s3, s30, s29
	s_add_i32 s29, s3, s31
	s_lshl_b64 s[26:27], s[28:29], 3
	s_add_u32 s23, s20, s26
	s_addc_u32 s25, s21, s27
	s_add_i32 s3, s34, s33
	s_lshl_b64 s[8:9], s[18:19], 3
	s_lshl_b64 s[10:11], s[18:19], 5
	s_add_i32 s26, s3, s33
	s_mul_i32 s27, s18, s18
	s_branch .LBB29_10
.LBB29_9:                               ;   in Loop: Header=BB29_10 Depth=1
	s_or_b32 exec_lo, exec_lo, s3
	v_add_co_u32 v5, vcc_lo, v5, 32
	v_add_co_ci_u32_e64 v6, null, 0, v6, vcc_lo
	v_add_co_u32 v9, s3, v9, s10
	v_add_co_ci_u32_e64 v10, null, s11, v10, s3
	v_cmp_le_i64_e32 vcc_lo, s[18:19], v[5:6]
	s_or_b32 s17, vcc_lo, s17
	s_andn2_b32 exec_lo, exec_lo, s17
	s_cbranch_execz .LBB29_26
.LBB29_10:                              ; =>This Loop Header: Depth=1
                                        ;     Child Loop BB29_14 Depth 2
                                        ;       Child Loop BB29_17 Depth 3
	v_mov_b32_e32 v13, 0
	v_mov_b32_e32 v14, 0
	s_andn2_b32 vcc_lo, exec_lo, s22
	s_cbranch_vccnz .LBB29_21
; %bb.11:                               ;   in Loop: Header=BB29_10 Depth=1
	v_mov_b32_e32 v13, 0
	s_waitcnt lgkmcnt(0)
	v_mov_b32_e32 v16, v10
	v_mov_b32_e32 v14, 0
	;; [unrolled: 1-line block ×3, first 2 shown]
	s_mov_b64 s[20:21], s[4:5]
	s_branch .LBB29_14
.LBB29_12:                              ;   in Loop: Header=BB29_14 Depth=2
	s_or_b32 exec_lo, exec_lo, s30
.LBB29_13:                              ;   in Loop: Header=BB29_14 Depth=2
	s_or_b32 exec_lo, exec_lo, s28
	s_add_u32 s20, s20, 1
	s_addc_u32 s21, s21, 0
	v_add_co_u32 v15, vcc_lo, v15, s27
	v_cmp_ge_i64_e64 s3, s[20:21], s[6:7]
	v_add_co_ci_u32_e64 v16, null, s26, v16, vcc_lo
	s_and_b32 vcc_lo, exec_lo, s3
	s_cbranch_vccnz .LBB29_21
.LBB29_14:                              ;   Parent Loop BB29_10 Depth=1
                                        ; =>  This Loop Header: Depth=2
                                        ;       Child Loop BB29_17 Depth 3
	s_and_saveexec_b32 s28, s1
	s_cbranch_execz .LBB29_13
; %bb.15:                               ;   in Loop: Header=BB29_14 Depth=2
	s_lshl_b64 s[30:31], s[20:21], 3
	s_mul_i32 s29, s20, s19
	s_add_u32 s30, s12, s30
	s_addc_u32 s31, s13, s31
	v_mov_b32_e32 v20, v8
	s_load_dwordx2 s[30:31], s[30:31], 0x0
	v_mov_b32_e32 v19, v7
	s_mul_i32 s33, s21, s18
	s_waitcnt lgkmcnt(0)
	s_sub_u32 s3, s30, s16
	s_subb_u32 s31, s31, 0
	v_mad_u64_u32 v[17:18], null, s8, s3, v[11:12]
	s_mul_i32 s3, s9, s3
	s_mul_i32 s31, s8, s31
	s_mul_hi_u32 s30, s20, s18
	s_add_i32 s29, s30, s29
	s_mov_b32 s30, 0
	v_add3_u32 v18, s31, s3, v18
	s_add_i32 s29, s29, s33
	s_mul_i32 s31, s20, s18
	s_branch .LBB29_17
.LBB29_16:                              ;   in Loop: Header=BB29_17 Depth=3
	v_lshlrev_b64 v[21:22], 3, v[21:22]
	v_add_co_u32 v21, vcc_lo, s14, v21
	v_add_co_ci_u32_e64 v22, null, s15, v22, vcc_lo
	v_add_co_u32 v19, vcc_lo, v19, 32
	v_add_co_ci_u32_e64 v20, null, 0, v20, vcc_lo
	global_load_dwordx2 v[21:22], v[21:22], off
	global_load_dwordx2 v[27:28], v[17:18], off
	v_add_co_u32 v17, s3, 0x100, v17
	v_cmp_le_i64_e32 vcc_lo, s[18:19], v[19:20]
	v_add_co_ci_u32_e64 v18, null, 0, v18, s3
	s_or_b32 s30, vcc_lo, s30
	s_waitcnt vmcnt(0)
	v_fma_f64 v[13:14], v[21:22], v[27:28], v[13:14]
	s_andn2_b32 exec_lo, exec_lo, s30
	s_cbranch_execz .LBB29_12
.LBB29_17:                              ;   Parent Loop BB29_10 Depth=1
                                        ;     Parent Loop BB29_14 Depth=2
                                        ; =>    This Inner Loop Header: Depth=3
	s_and_b32 vcc_lo, exec_lo, s24
	s_cbranch_vccz .LBB29_19
; %bb.18:                               ;   in Loop: Header=BB29_17 Depth=3
	v_add_co_u32 v21, vcc_lo, v19, s31
	v_add_co_ci_u32_e64 v22, null, s29, v20, vcc_lo
	v_mul_lo_u32 v27, v21, s19
	v_mul_lo_u32 v28, v22, s18
	v_mad_u64_u32 v[21:22], null, v21, s18, v[5:6]
	v_add3_u32 v22, v28, v22, v27
	s_cbranch_execnz .LBB29_16
	s_branch .LBB29_20
.LBB29_19:                              ;   in Loop: Header=BB29_17 Depth=3
                                        ; implicit-def: $vgpr21_vgpr22
.LBB29_20:                              ;   in Loop: Header=BB29_17 Depth=3
	v_add_co_u32 v21, vcc_lo, v15, v19
	v_add_co_ci_u32_e64 v22, null, v16, v20, vcc_lo
	s_branch .LBB29_16
.LBB29_21:                              ;   in Loop: Header=BB29_10 Depth=1
	s_waitcnt lgkmcnt(1)
	ds_bpermute_b32 v15, v0, v13
	s_waitcnt lgkmcnt(1)
	ds_bpermute_b32 v16, v0, v14
	s_waitcnt lgkmcnt(0)
	v_add_f64 v[13:14], v[13:14], v[15:16]
	ds_bpermute_b32 v15, v23, v13
	ds_bpermute_b32 v16, v23, v14
	s_waitcnt lgkmcnt(0)
	v_add_f64 v[13:14], v[13:14], v[15:16]
	ds_bpermute_b32 v15, v24, v13
	;; [unrolled: 4-line block ×4, first 2 shown]
	ds_bpermute_b32 v16, v26, v14
	s_and_saveexec_b32 s3, s2
	s_cbranch_execz .LBB29_9
; %bb.22:                               ;   in Loop: Header=BB29_10 Depth=1
	s_waitcnt lgkmcnt(0)
	v_add_f64 v[13:14], v[13:14], v[15:16]
	v_lshlrev_b64 v[15:16], 3, v[5:6]
	v_mul_f64 v[13:14], v[1:2], v[13:14]
	s_and_saveexec_b32 s20, s0
	s_xor_b32 s20, exec_lo, s20
	s_cbranch_execz .LBB29_24
; %bb.23:                               ;   in Loop: Header=BB29_10 Depth=1
	v_add_co_u32 v15, vcc_lo, s23, v15
	v_add_co_ci_u32_e64 v16, null, s25, v16, vcc_lo
	global_store_dwordx2 v[15:16], v[13:14], off
                                        ; implicit-def: $vgpr15_vgpr16
                                        ; implicit-def: $vgpr13_vgpr14
.LBB29_24:                              ;   in Loop: Header=BB29_10 Depth=1
	s_andn2_saveexec_b32 s20, s20
	s_cbranch_execz .LBB29_9
; %bb.25:                               ;   in Loop: Header=BB29_10 Depth=1
	v_add_co_u32 v15, vcc_lo, s23, v15
	v_add_co_ci_u32_e64 v16, null, s25, v16, vcc_lo
	global_load_dwordx2 v[17:18], v[15:16], off
	s_waitcnt vmcnt(0)
	v_fma_f64 v[13:14], v[3:4], v[17:18], v[13:14]
	global_store_dwordx2 v[15:16], v[13:14], off
	s_branch .LBB29_9
.LBB29_26:
	s_endpgm
	.section	.rodata,"a",@progbits
	.p2align	6, 0x0
	.amdhsa_kernel _ZN9rocsparseL22bsrxmvn_general_kernelILj1024ELj32EdlldddEEv20rocsparse_direction_NS_24const_host_device_scalarIT1_EET3_PKS5_PKT2_SA_S7_PKT4_S5_PKT5_S4_PT6_21rocsparse_index_base_b
		.amdhsa_group_segment_fixed_size 0
		.amdhsa_private_segment_fixed_size 0
		.amdhsa_kernarg_size 104
		.amdhsa_user_sgpr_count 6
		.amdhsa_user_sgpr_private_segment_buffer 1
		.amdhsa_user_sgpr_dispatch_ptr 0
		.amdhsa_user_sgpr_queue_ptr 0
		.amdhsa_user_sgpr_kernarg_segment_ptr 1
		.amdhsa_user_sgpr_dispatch_id 0
		.amdhsa_user_sgpr_flat_scratch_init 0
		.amdhsa_user_sgpr_private_segment_size 0
		.amdhsa_wavefront_size32 1
		.amdhsa_uses_dynamic_stack 0
		.amdhsa_system_sgpr_private_segment_wavefront_offset 0
		.amdhsa_system_sgpr_workgroup_id_x 1
		.amdhsa_system_sgpr_workgroup_id_y 0
		.amdhsa_system_sgpr_workgroup_id_z 0
		.amdhsa_system_sgpr_workgroup_info 0
		.amdhsa_system_vgpr_workitem_id 0
		.amdhsa_next_free_vgpr 29
		.amdhsa_next_free_sgpr 35
		.amdhsa_reserve_vcc 1
		.amdhsa_reserve_flat_scratch 0
		.amdhsa_float_round_mode_32 0
		.amdhsa_float_round_mode_16_64 0
		.amdhsa_float_denorm_mode_32 3
		.amdhsa_float_denorm_mode_16_64 3
		.amdhsa_dx10_clamp 1
		.amdhsa_ieee_mode 1
		.amdhsa_fp16_overflow 0
		.amdhsa_workgroup_processor_mode 1
		.amdhsa_memory_ordered 1
		.amdhsa_forward_progress 1
		.amdhsa_shared_vgpr_count 0
		.amdhsa_exception_fp_ieee_invalid_op 0
		.amdhsa_exception_fp_denorm_src 0
		.amdhsa_exception_fp_ieee_div_zero 0
		.amdhsa_exception_fp_ieee_overflow 0
		.amdhsa_exception_fp_ieee_underflow 0
		.amdhsa_exception_fp_ieee_inexact 0
		.amdhsa_exception_int_div_zero 0
	.end_amdhsa_kernel
	.section	.text._ZN9rocsparseL22bsrxmvn_general_kernelILj1024ELj32EdlldddEEv20rocsparse_direction_NS_24const_host_device_scalarIT1_EET3_PKS5_PKT2_SA_S7_PKT4_S5_PKT5_S4_PT6_21rocsparse_index_base_b,"axG",@progbits,_ZN9rocsparseL22bsrxmvn_general_kernelILj1024ELj32EdlldddEEv20rocsparse_direction_NS_24const_host_device_scalarIT1_EET3_PKS5_PKT2_SA_S7_PKT4_S5_PKT5_S4_PT6_21rocsparse_index_base_b,comdat
.Lfunc_end29:
	.size	_ZN9rocsparseL22bsrxmvn_general_kernelILj1024ELj32EdlldddEEv20rocsparse_direction_NS_24const_host_device_scalarIT1_EET3_PKS5_PKT2_SA_S7_PKT4_S5_PKT5_S4_PT6_21rocsparse_index_base_b, .Lfunc_end29-_ZN9rocsparseL22bsrxmvn_general_kernelILj1024ELj32EdlldddEEv20rocsparse_direction_NS_24const_host_device_scalarIT1_EET3_PKS5_PKT2_SA_S7_PKT4_S5_PKT5_S4_PT6_21rocsparse_index_base_b
                                        ; -- End function
	.set _ZN9rocsparseL22bsrxmvn_general_kernelILj1024ELj32EdlldddEEv20rocsparse_direction_NS_24const_host_device_scalarIT1_EET3_PKS5_PKT2_SA_S7_PKT4_S5_PKT5_S4_PT6_21rocsparse_index_base_b.num_vgpr, 29
	.set _ZN9rocsparseL22bsrxmvn_general_kernelILj1024ELj32EdlldddEEv20rocsparse_direction_NS_24const_host_device_scalarIT1_EET3_PKS5_PKT2_SA_S7_PKT4_S5_PKT5_S4_PT6_21rocsparse_index_base_b.num_agpr, 0
	.set _ZN9rocsparseL22bsrxmvn_general_kernelILj1024ELj32EdlldddEEv20rocsparse_direction_NS_24const_host_device_scalarIT1_EET3_PKS5_PKT2_SA_S7_PKT4_S5_PKT5_S4_PT6_21rocsparse_index_base_b.numbered_sgpr, 35
	.set _ZN9rocsparseL22bsrxmvn_general_kernelILj1024ELj32EdlldddEEv20rocsparse_direction_NS_24const_host_device_scalarIT1_EET3_PKS5_PKT2_SA_S7_PKT4_S5_PKT5_S4_PT6_21rocsparse_index_base_b.num_named_barrier, 0
	.set _ZN9rocsparseL22bsrxmvn_general_kernelILj1024ELj32EdlldddEEv20rocsparse_direction_NS_24const_host_device_scalarIT1_EET3_PKS5_PKT2_SA_S7_PKT4_S5_PKT5_S4_PT6_21rocsparse_index_base_b.private_seg_size, 0
	.set _ZN9rocsparseL22bsrxmvn_general_kernelILj1024ELj32EdlldddEEv20rocsparse_direction_NS_24const_host_device_scalarIT1_EET3_PKS5_PKT2_SA_S7_PKT4_S5_PKT5_S4_PT6_21rocsparse_index_base_b.uses_vcc, 1
	.set _ZN9rocsparseL22bsrxmvn_general_kernelILj1024ELj32EdlldddEEv20rocsparse_direction_NS_24const_host_device_scalarIT1_EET3_PKS5_PKT2_SA_S7_PKT4_S5_PKT5_S4_PT6_21rocsparse_index_base_b.uses_flat_scratch, 0
	.set _ZN9rocsparseL22bsrxmvn_general_kernelILj1024ELj32EdlldddEEv20rocsparse_direction_NS_24const_host_device_scalarIT1_EET3_PKS5_PKT2_SA_S7_PKT4_S5_PKT5_S4_PT6_21rocsparse_index_base_b.has_dyn_sized_stack, 0
	.set _ZN9rocsparseL22bsrxmvn_general_kernelILj1024ELj32EdlldddEEv20rocsparse_direction_NS_24const_host_device_scalarIT1_EET3_PKS5_PKT2_SA_S7_PKT4_S5_PKT5_S4_PT6_21rocsparse_index_base_b.has_recursion, 0
	.set _ZN9rocsparseL22bsrxmvn_general_kernelILj1024ELj32EdlldddEEv20rocsparse_direction_NS_24const_host_device_scalarIT1_EET3_PKS5_PKT2_SA_S7_PKT4_S5_PKT5_S4_PT6_21rocsparse_index_base_b.has_indirect_call, 0
	.section	.AMDGPU.csdata,"",@progbits
; Kernel info:
; codeLenInByte = 1332
; TotalNumSgprs: 37
; NumVgprs: 29
; ScratchSize: 0
; MemoryBound: 0
; FloatMode: 240
; IeeeMode: 1
; LDSByteSize: 0 bytes/workgroup (compile time only)
; SGPRBlocks: 0
; VGPRBlocks: 3
; NumSGPRsForWavesPerEU: 37
; NumVGPRsForWavesPerEU: 29
; Occupancy: 16
; WaveLimiterHint : 1
; COMPUTE_PGM_RSRC2:SCRATCH_EN: 0
; COMPUTE_PGM_RSRC2:USER_SGPR: 6
; COMPUTE_PGM_RSRC2:TRAP_HANDLER: 0
; COMPUTE_PGM_RSRC2:TGID_X_EN: 1
; COMPUTE_PGM_RSRC2:TGID_Y_EN: 0
; COMPUTE_PGM_RSRC2:TGID_Z_EN: 0
; COMPUTE_PGM_RSRC2:TIDIG_COMP_CNT: 0
	.section	.text._ZN9rocsparseL22bsrxmvn_general_kernelILj64ELj8E21rocsparse_complex_numIfEllS2_S2_S2_EEv20rocsparse_direction_NS_24const_host_device_scalarIT1_EET3_PKS7_PKT2_SC_S9_PKT4_S7_PKT5_S6_PT6_21rocsparse_index_base_b,"axG",@progbits,_ZN9rocsparseL22bsrxmvn_general_kernelILj64ELj8E21rocsparse_complex_numIfEllS2_S2_S2_EEv20rocsparse_direction_NS_24const_host_device_scalarIT1_EET3_PKS7_PKT2_SC_S9_PKT4_S7_PKT5_S6_PT6_21rocsparse_index_base_b,comdat
	.globl	_ZN9rocsparseL22bsrxmvn_general_kernelILj64ELj8E21rocsparse_complex_numIfEllS2_S2_S2_EEv20rocsparse_direction_NS_24const_host_device_scalarIT1_EET3_PKS7_PKT2_SC_S9_PKT4_S7_PKT5_S6_PT6_21rocsparse_index_base_b ; -- Begin function _ZN9rocsparseL22bsrxmvn_general_kernelILj64ELj8E21rocsparse_complex_numIfEllS2_S2_S2_EEv20rocsparse_direction_NS_24const_host_device_scalarIT1_EET3_PKS7_PKT2_SC_S9_PKT4_S7_PKT5_S6_PT6_21rocsparse_index_base_b
	.p2align	8
	.type	_ZN9rocsparseL22bsrxmvn_general_kernelILj64ELj8E21rocsparse_complex_numIfEllS2_S2_S2_EEv20rocsparse_direction_NS_24const_host_device_scalarIT1_EET3_PKS7_PKT2_SC_S9_PKT4_S7_PKT5_S6_PT6_21rocsparse_index_base_b,@function
_ZN9rocsparseL22bsrxmvn_general_kernelILj64ELj8E21rocsparse_complex_numIfEllS2_S2_S2_EEv20rocsparse_direction_NS_24const_host_device_scalarIT1_EET3_PKS7_PKT2_SC_S9_PKT4_S7_PKT5_S6_PT6_21rocsparse_index_base_b: ; @_ZN9rocsparseL22bsrxmvn_general_kernelILj64ELj8E21rocsparse_complex_numIfEllS2_S2_S2_EEv20rocsparse_direction_NS_24const_host_device_scalarIT1_EET3_PKS7_PKT2_SC_S9_PKT4_S7_PKT5_S6_PT6_21rocsparse_index_base_b
; %bb.0:
	s_clause 0x2
	s_load_dwordx2 s[16:17], s[4:5], 0x60
	s_load_dwordx2 s[0:1], s[4:5], 0x8
	;; [unrolled: 1-line block ×3, first 2 shown]
	s_add_u32 s7, s4, 8
	s_addc_u32 s8, s5, 0
	s_add_u32 s9, s4, 0x50
	s_addc_u32 s10, s5, 0
	s_waitcnt lgkmcnt(0)
	s_bitcmp1_b32 s17, 0
	s_cselect_b32 s0, s7, s0
	s_cselect_b32 s1, s8, s1
	v_mov_b32_e32 v1, s0
	v_mov_b32_e32 v2, s1
	s_cselect_b32 s0, s9, s2
	s_cselect_b32 s1, s10, s3
	v_mov_b32_e32 v3, s0
	v_mov_b32_e32 v4, s1
	flat_load_dwordx2 v[1:2], v[1:2]
	flat_load_dwordx2 v[3:4], v[3:4]
	s_waitcnt vmcnt(1) lgkmcnt(1)
	v_cmp_eq_f32_e32 vcc_lo, 0, v1
	v_cmp_eq_f32_e64 s0, 0, v2
	s_and_b32 s2, vcc_lo, s0
	s_mov_b32 s0, -1
	s_and_saveexec_b32 s1, s2
	s_cbranch_execz .LBB30_2
; %bb.1:
	s_waitcnt vmcnt(0) lgkmcnt(0)
	v_cmp_neq_f32_e32 vcc_lo, 1.0, v3
	v_cmp_neq_f32_e64 s0, 0, v4
	s_or_b32 s0, vcc_lo, s0
	s_orn2_b32 s0, s0, exec_lo
.LBB30_2:
	s_or_b32 exec_lo, exec_lo, s1
	s_and_saveexec_b32 s1, s0
	s_cbranch_execz .LBB30_24
; %bb.3:
	s_load_dwordx2 s[0:1], s[4:5], 0x18
	s_mov_b32 s7, 0
	s_waitcnt lgkmcnt(0)
	s_cmp_eq_u64 s[0:1], 0
	s_cbranch_scc1 .LBB30_5
; %bb.4:
	s_lshl_b64 s[2:3], s[6:7], 3
	s_add_u32 s0, s0, s2
	s_addc_u32 s1, s1, s3
	s_load_dwordx2 s[0:1], s[0:1], 0x0
	s_waitcnt lgkmcnt(0)
	s_sub_u32 s6, s0, s16
	s_subb_u32 s7, s1, 0
.LBB30_5:
	s_load_dwordx2 s[18:19], s[4:5], 0x40
	v_lshrrev_b32_e32 v5, 3, v0
	v_mov_b32_e32 v6, 0
	s_waitcnt lgkmcnt(0)
	v_cmp_gt_i64_e32 vcc_lo, s[18:19], v[5:6]
	s_and_b32 exec_lo, exec_lo, vcc_lo
	s_cbranch_execz .LBB30_24
; %bb.6:
	s_load_dwordx8 s[8:15], s[4:5], 0x20
	s_lshl_b64 s[24:25], s[6:7], 3
	v_and_b32_e32 v7, 7, v0
	v_mbcnt_lo_u32_b32 v0, -1, 0
	s_load_dword s29, s[4:5], 0x0
	s_mul_i32 s30, s6, s19
	s_mul_hi_u32 s31, s6, s18
	s_mul_i32 s28, s6, s18
	v_xor_b32_e32 v9, 4, v0
	s_mul_i32 s33, s7, s18
	v_xor_b32_e32 v10, 2, v0
	v_xor_b32_e32 v11, 1, v0
	v_lshlrev_b32_e32 v12, 3, v7
	v_mov_b32_e32 v8, v6
	s_waitcnt vmcnt(0)
	v_cmp_eq_f32_e32 vcc_lo, 0, v3
	v_cmp_eq_f32_e64 s2, 0, v4
	s_mul_i32 s34, s18, s19
	s_mul_hi_u32 s35, s18, s18
	v_cmp_gt_u64_e64 s0, s[18:19], v[7:8]
	v_cmp_eq_u32_e64 s1, 7, v7
	s_waitcnt lgkmcnt(0)
	s_add_u32 s26, s8, s24
	s_addc_u32 s27, s9, s25
	s_mov_b32 s17, 0
	s_load_dwordx2 s[20:21], s[26:27], 0x0
	s_clause 0x1
	s_load_dwordx2 s[8:9], s[4:5], 0x58
	s_load_dwordx2 s[22:23], s[4:5], 0x48
	s_waitcnt lgkmcnt(0)
	s_sub_u32 s4, s20, s16
	s_subb_u32 s5, s21, 0
	s_add_u32 s3, s26, 8
	s_addc_u32 s6, s27, 0
	s_add_u32 s24, s10, s24
	s_addc_u32 s7, s11, s25
	s_cmp_eq_u64 s[10:11], 0
	s_mul_i32 s25, s18, s18
	s_cselect_b32 s7, s6, s7
	s_cselect_b32 s6, s3, s24
	v_cmp_gt_i32_e64 s3, 32, v9
	s_load_dwordx2 s[10:11], s[6:7], 0x0
	s_mul_i32 s6, s18, s5
	v_cndmask_b32_e64 v13, v0, v9, s3
	v_cmp_gt_i32_e64 s3, 32, v10
	v_cndmask_b32_e64 v14, v0, v10, s3
	v_cmp_gt_i32_e64 s3, 32, v11
	v_mad_u64_u32 v[9:10], null, s18, s4, v[5:6]
	v_lshlrev_b32_e32 v21, 2, v14
	v_cndmask_b32_e64 v11, v0, v11, s3
	s_mul_i32 s3, s19, s4
	v_lshlrev_b32_e32 v0, 2, v13
	v_mul_lo_u32 v14, s19, v9
	v_lshlrev_b32_e32 v22, 2, v11
	v_add3_u32 v11, s6, s3, v10
	v_add_co_u32 v12, s3, s22, v12
	v_add_co_ci_u32_e64 v13, null, s23, 0, s3
	s_waitcnt lgkmcnt(0)
	s_sub_u32 s6, s10, s16
	s_subb_u32 s7, s11, 0
	v_mad_u64_u32 v[9:10], null, s18, v9, 0
	v_mul_lo_u32 v15, s18, v11
	s_cmp_lg_u32 s29, 0
	v_add_co_u32 v11, s3, v12, 4
	v_add_co_ci_u32_e64 v12, null, 0, v13, s3
	s_cselect_b32 s3, -1, 0
	s_add_i32 s22, s31, s30
	v_cmp_lt_i64_e64 s20, s[20:21], s[10:11]
	s_add_i32 s29, s22, s33
	s_and_b32 s21, vcc_lo, s2
	s_lshl_b64 s[10:11], s[28:29], 3
	v_add3_u32 v10, v10, v15, v14
	s_add_u32 s22, s8, s10
	s_addc_u32 s23, s9, s11
	s_add_i32 s2, s35, s34
	s_lshl_b64 s[8:9], s[18:19], 3
	s_add_i32 s24, s2, s34
	s_branch .LBB30_8
.LBB30_7:                               ;   in Loop: Header=BB30_8 Depth=1
	s_or_b32 exec_lo, exec_lo, s2
	v_add_co_u32 v5, vcc_lo, v5, 8
	v_add_co_ci_u32_e64 v6, null, 0, v6, vcc_lo
	v_add_co_u32 v9, s2, v9, s8
	v_add_co_ci_u32_e64 v10, null, s9, v10, s2
	v_cmp_le_i64_e32 vcc_lo, s[18:19], v[5:6]
	s_or_b32 s17, vcc_lo, s17
	s_andn2_b32 exec_lo, exec_lo, s17
	s_cbranch_execz .LBB30_24
.LBB30_8:                               ; =>This Loop Header: Depth=1
                                        ;     Child Loop BB30_12 Depth 2
                                        ;       Child Loop BB30_15 Depth 3
	v_mov_b32_e32 v23, 0
	v_mov_b32_e32 v24, 0
	s_andn2_b32 vcc_lo, exec_lo, s20
	s_cbranch_vccnz .LBB30_19
; %bb.9:                                ;   in Loop: Header=BB30_8 Depth=1
	s_waitcnt lgkmcnt(1)
	v_mov_b32_e32 v14, v10
	v_mov_b32_e32 v23, 0
	v_mov_b32_e32 v13, v9
	v_mov_b32_e32 v24, 0
	s_mov_b64 s[10:11], s[4:5]
	s_branch .LBB30_12
.LBB30_10:                              ;   in Loop: Header=BB30_12 Depth=2
	s_or_b32 exec_lo, exec_lo, s28
.LBB30_11:                              ;   in Loop: Header=BB30_12 Depth=2
	s_or_b32 exec_lo, exec_lo, s26
	s_add_u32 s10, s10, 1
	s_addc_u32 s11, s11, 0
	v_add_co_u32 v13, vcc_lo, v13, s25
	v_cmp_ge_i64_e64 s2, s[10:11], s[6:7]
	v_add_co_ci_u32_e64 v14, null, s24, v14, vcc_lo
	s_and_b32 vcc_lo, exec_lo, s2
	s_cbranch_vccnz .LBB30_19
.LBB30_12:                              ;   Parent Loop BB30_8 Depth=1
                                        ; =>  This Loop Header: Depth=2
                                        ;       Child Loop BB30_15 Depth 3
	s_and_saveexec_b32 s26, s0
	s_cbranch_execz .LBB30_11
; %bb.13:                               ;   in Loop: Header=BB30_12 Depth=2
	s_lshl_b64 s[28:29], s[10:11], 3
	s_mul_i32 s27, s10, s19
	s_add_u32 s28, s12, s28
	s_addc_u32 s29, s13, s29
	v_mov_b32_e32 v18, v8
	s_load_dwordx2 s[28:29], s[28:29], 0x0
	v_mov_b32_e32 v17, v7
	s_mul_i32 s30, s11, s18
	s_waitcnt lgkmcnt(0)
	s_sub_u32 s2, s28, s16
	s_subb_u32 s29, s29, 0
	v_mad_u64_u32 v[15:16], null, s8, s2, v[11:12]
	s_mul_i32 s2, s9, s2
	s_mul_i32 s29, s8, s29
	s_mul_hi_u32 s28, s10, s18
	s_add_i32 s27, s28, s27
	s_mov_b32 s28, 0
	v_add3_u32 v16, s29, s2, v16
	s_add_i32 s27, s27, s30
	s_mul_i32 s29, s10, s18
	s_branch .LBB30_15
.LBB30_14:                              ;   in Loop: Header=BB30_15 Depth=3
	v_lshlrev_b64 v[19:20], 3, v[19:20]
	v_add_co_u32 v19, vcc_lo, s14, v19
	v_add_co_ci_u32_e64 v20, null, s15, v20, vcc_lo
	v_add_co_u32 v17, vcc_lo, v17, 8
	global_load_dwordx2 v[25:26], v[15:16], off offset:-4
	global_load_dwordx2 v[19:20], v[19:20], off
	v_add_co_ci_u32_e64 v18, null, 0, v18, vcc_lo
	v_add_co_u32 v15, s2, v15, 64
	v_add_co_ci_u32_e64 v16, null, 0, v16, s2
	v_cmp_le_i64_e32 vcc_lo, s[18:19], v[17:18]
	s_or_b32 s28, vcc_lo, s28
	s_waitcnt vmcnt(0)
	v_fmac_f32_e32 v24, v19, v25
	v_fmac_f32_e32 v23, v20, v25
	v_fma_f32 v24, -v20, v26, v24
	v_fmac_f32_e32 v23, v19, v26
	s_andn2_b32 exec_lo, exec_lo, s28
	s_cbranch_execz .LBB30_10
.LBB30_15:                              ;   Parent Loop BB30_8 Depth=1
                                        ;     Parent Loop BB30_12 Depth=2
                                        ; =>    This Inner Loop Header: Depth=3
	s_and_b32 vcc_lo, exec_lo, s3
	s_cbranch_vccz .LBB30_17
; %bb.16:                               ;   in Loop: Header=BB30_15 Depth=3
	v_add_co_u32 v19, vcc_lo, v17, s29
	v_add_co_ci_u32_e64 v20, null, s27, v18, vcc_lo
	v_mul_lo_u32 v25, v19, s19
	v_mul_lo_u32 v26, v20, s18
	v_mad_u64_u32 v[19:20], null, v19, s18, v[5:6]
	v_add3_u32 v20, v26, v20, v25
	s_cbranch_execnz .LBB30_14
	s_branch .LBB30_18
.LBB30_17:                              ;   in Loop: Header=BB30_15 Depth=3
                                        ; implicit-def: $vgpr19_vgpr20
.LBB30_18:                              ;   in Loop: Header=BB30_15 Depth=3
	v_add_co_u32 v19, vcc_lo, v13, v17
	v_add_co_ci_u32_e64 v20, null, v14, v18, vcc_lo
	s_branch .LBB30_14
.LBB30_19:                              ;   in Loop: Header=BB30_8 Depth=1
	ds_bpermute_b32 v13, v0, v24
	s_waitcnt lgkmcnt(2)
	ds_bpermute_b32 v14, v0, v23
	s_waitcnt lgkmcnt(1)
	v_add_f32_e32 v13, v24, v13
	s_waitcnt lgkmcnt(0)
	v_add_f32_e32 v14, v23, v14
	ds_bpermute_b32 v15, v21, v13
	ds_bpermute_b32 v16, v21, v14
	s_waitcnt lgkmcnt(1)
	v_add_f32_e32 v13, v13, v15
	s_waitcnt lgkmcnt(0)
	v_add_f32_e32 v15, v14, v16
	ds_bpermute_b32 v14, v22, v13
	ds_bpermute_b32 v16, v22, v15
	s_and_saveexec_b32 s2, s1
	s_cbranch_execz .LBB30_7
; %bb.20:                               ;   in Loop: Header=BB30_8 Depth=1
	s_waitcnt lgkmcnt(0)
	v_add_f32_e32 v15, v15, v16
	v_add_f32_e32 v17, v13, v14
	v_mul_f32_e64 v13, v15, -v2
	v_mul_f32_e32 v14, v1, v15
	v_lshlrev_b64 v[15:16], 3, v[5:6]
	v_fmac_f32_e32 v13, v1, v17
	v_fmac_f32_e32 v14, v2, v17
	s_and_saveexec_b32 s10, s21
	s_xor_b32 s10, exec_lo, s10
	s_cbranch_execz .LBB30_22
; %bb.21:                               ;   in Loop: Header=BB30_8 Depth=1
	v_add_co_u32 v15, vcc_lo, s22, v15
	v_add_co_ci_u32_e64 v16, null, s23, v16, vcc_lo
	global_store_dwordx2 v[15:16], v[13:14], off
                                        ; implicit-def: $vgpr15_vgpr16
                                        ; implicit-def: $vgpr13
.LBB30_22:                              ;   in Loop: Header=BB30_8 Depth=1
	s_andn2_saveexec_b32 s10, s10
	s_cbranch_execz .LBB30_7
; %bb.23:                               ;   in Loop: Header=BB30_8 Depth=1
	v_add_co_u32 v15, vcc_lo, s22, v15
	v_add_co_ci_u32_e64 v16, null, s23, v16, vcc_lo
	global_load_dwordx2 v[17:18], v[15:16], off
	s_waitcnt vmcnt(0)
	v_fmac_f32_e32 v13, v3, v17
	v_fmac_f32_e32 v14, v4, v17
	v_fma_f32 v13, -v4, v18, v13
	v_fmac_f32_e32 v14, v3, v18
	global_store_dwordx2 v[15:16], v[13:14], off
	s_branch .LBB30_7
.LBB30_24:
	s_endpgm
	.section	.rodata,"a",@progbits
	.p2align	6, 0x0
	.amdhsa_kernel _ZN9rocsparseL22bsrxmvn_general_kernelILj64ELj8E21rocsparse_complex_numIfEllS2_S2_S2_EEv20rocsparse_direction_NS_24const_host_device_scalarIT1_EET3_PKS7_PKT2_SC_S9_PKT4_S7_PKT5_S6_PT6_21rocsparse_index_base_b
		.amdhsa_group_segment_fixed_size 0
		.amdhsa_private_segment_fixed_size 0
		.amdhsa_kernarg_size 104
		.amdhsa_user_sgpr_count 6
		.amdhsa_user_sgpr_private_segment_buffer 1
		.amdhsa_user_sgpr_dispatch_ptr 0
		.amdhsa_user_sgpr_queue_ptr 0
		.amdhsa_user_sgpr_kernarg_segment_ptr 1
		.amdhsa_user_sgpr_dispatch_id 0
		.amdhsa_user_sgpr_flat_scratch_init 0
		.amdhsa_user_sgpr_private_segment_size 0
		.amdhsa_wavefront_size32 1
		.amdhsa_uses_dynamic_stack 0
		.amdhsa_system_sgpr_private_segment_wavefront_offset 0
		.amdhsa_system_sgpr_workgroup_id_x 1
		.amdhsa_system_sgpr_workgroup_id_y 0
		.amdhsa_system_sgpr_workgroup_id_z 0
		.amdhsa_system_sgpr_workgroup_info 0
		.amdhsa_system_vgpr_workitem_id 0
		.amdhsa_next_free_vgpr 27
		.amdhsa_next_free_sgpr 36
		.amdhsa_reserve_vcc 1
		.amdhsa_reserve_flat_scratch 0
		.amdhsa_float_round_mode_32 0
		.amdhsa_float_round_mode_16_64 0
		.amdhsa_float_denorm_mode_32 3
		.amdhsa_float_denorm_mode_16_64 3
		.amdhsa_dx10_clamp 1
		.amdhsa_ieee_mode 1
		.amdhsa_fp16_overflow 0
		.amdhsa_workgroup_processor_mode 1
		.amdhsa_memory_ordered 1
		.amdhsa_forward_progress 1
		.amdhsa_shared_vgpr_count 0
		.amdhsa_exception_fp_ieee_invalid_op 0
		.amdhsa_exception_fp_denorm_src 0
		.amdhsa_exception_fp_ieee_div_zero 0
		.amdhsa_exception_fp_ieee_overflow 0
		.amdhsa_exception_fp_ieee_underflow 0
		.amdhsa_exception_fp_ieee_inexact 0
		.amdhsa_exception_int_div_zero 0
	.end_amdhsa_kernel
	.section	.text._ZN9rocsparseL22bsrxmvn_general_kernelILj64ELj8E21rocsparse_complex_numIfEllS2_S2_S2_EEv20rocsparse_direction_NS_24const_host_device_scalarIT1_EET3_PKS7_PKT2_SC_S9_PKT4_S7_PKT5_S6_PT6_21rocsparse_index_base_b,"axG",@progbits,_ZN9rocsparseL22bsrxmvn_general_kernelILj64ELj8E21rocsparse_complex_numIfEllS2_S2_S2_EEv20rocsparse_direction_NS_24const_host_device_scalarIT1_EET3_PKS7_PKT2_SC_S9_PKT4_S7_PKT5_S6_PT6_21rocsparse_index_base_b,comdat
.Lfunc_end30:
	.size	_ZN9rocsparseL22bsrxmvn_general_kernelILj64ELj8E21rocsparse_complex_numIfEllS2_S2_S2_EEv20rocsparse_direction_NS_24const_host_device_scalarIT1_EET3_PKS7_PKT2_SC_S9_PKT4_S7_PKT5_S6_PT6_21rocsparse_index_base_b, .Lfunc_end30-_ZN9rocsparseL22bsrxmvn_general_kernelILj64ELj8E21rocsparse_complex_numIfEllS2_S2_S2_EEv20rocsparse_direction_NS_24const_host_device_scalarIT1_EET3_PKS7_PKT2_SC_S9_PKT4_S7_PKT5_S6_PT6_21rocsparse_index_base_b
                                        ; -- End function
	.set _ZN9rocsparseL22bsrxmvn_general_kernelILj64ELj8E21rocsparse_complex_numIfEllS2_S2_S2_EEv20rocsparse_direction_NS_24const_host_device_scalarIT1_EET3_PKS7_PKT2_SC_S9_PKT4_S7_PKT5_S6_PT6_21rocsparse_index_base_b.num_vgpr, 27
	.set _ZN9rocsparseL22bsrxmvn_general_kernelILj64ELj8E21rocsparse_complex_numIfEllS2_S2_S2_EEv20rocsparse_direction_NS_24const_host_device_scalarIT1_EET3_PKS7_PKT2_SC_S9_PKT4_S7_PKT5_S6_PT6_21rocsparse_index_base_b.num_agpr, 0
	.set _ZN9rocsparseL22bsrxmvn_general_kernelILj64ELj8E21rocsparse_complex_numIfEllS2_S2_S2_EEv20rocsparse_direction_NS_24const_host_device_scalarIT1_EET3_PKS7_PKT2_SC_S9_PKT4_S7_PKT5_S6_PT6_21rocsparse_index_base_b.numbered_sgpr, 36
	.set _ZN9rocsparseL22bsrxmvn_general_kernelILj64ELj8E21rocsparse_complex_numIfEllS2_S2_S2_EEv20rocsparse_direction_NS_24const_host_device_scalarIT1_EET3_PKS7_PKT2_SC_S9_PKT4_S7_PKT5_S6_PT6_21rocsparse_index_base_b.num_named_barrier, 0
	.set _ZN9rocsparseL22bsrxmvn_general_kernelILj64ELj8E21rocsparse_complex_numIfEllS2_S2_S2_EEv20rocsparse_direction_NS_24const_host_device_scalarIT1_EET3_PKS7_PKT2_SC_S9_PKT4_S7_PKT5_S6_PT6_21rocsparse_index_base_b.private_seg_size, 0
	.set _ZN9rocsparseL22bsrxmvn_general_kernelILj64ELj8E21rocsparse_complex_numIfEllS2_S2_S2_EEv20rocsparse_direction_NS_24const_host_device_scalarIT1_EET3_PKS7_PKT2_SC_S9_PKT4_S7_PKT5_S6_PT6_21rocsparse_index_base_b.uses_vcc, 1
	.set _ZN9rocsparseL22bsrxmvn_general_kernelILj64ELj8E21rocsparse_complex_numIfEllS2_S2_S2_EEv20rocsparse_direction_NS_24const_host_device_scalarIT1_EET3_PKS7_PKT2_SC_S9_PKT4_S7_PKT5_S6_PT6_21rocsparse_index_base_b.uses_flat_scratch, 0
	.set _ZN9rocsparseL22bsrxmvn_general_kernelILj64ELj8E21rocsparse_complex_numIfEllS2_S2_S2_EEv20rocsparse_direction_NS_24const_host_device_scalarIT1_EET3_PKS7_PKT2_SC_S9_PKT4_S7_PKT5_S6_PT6_21rocsparse_index_base_b.has_dyn_sized_stack, 0
	.set _ZN9rocsparseL22bsrxmvn_general_kernelILj64ELj8E21rocsparse_complex_numIfEllS2_S2_S2_EEv20rocsparse_direction_NS_24const_host_device_scalarIT1_EET3_PKS7_PKT2_SC_S9_PKT4_S7_PKT5_S6_PT6_21rocsparse_index_base_b.has_recursion, 0
	.set _ZN9rocsparseL22bsrxmvn_general_kernelILj64ELj8E21rocsparse_complex_numIfEllS2_S2_S2_EEv20rocsparse_direction_NS_24const_host_device_scalarIT1_EET3_PKS7_PKT2_SC_S9_PKT4_S7_PKT5_S6_PT6_21rocsparse_index_base_b.has_indirect_call, 0
	.section	.AMDGPU.csdata,"",@progbits
; Kernel info:
; codeLenInByte = 1364
; TotalNumSgprs: 38
; NumVgprs: 27
; ScratchSize: 0
; MemoryBound: 0
; FloatMode: 240
; IeeeMode: 1
; LDSByteSize: 0 bytes/workgroup (compile time only)
; SGPRBlocks: 0
; VGPRBlocks: 3
; NumSGPRsForWavesPerEU: 38
; NumVGPRsForWavesPerEU: 27
; Occupancy: 16
; WaveLimiterHint : 0
; COMPUTE_PGM_RSRC2:SCRATCH_EN: 0
; COMPUTE_PGM_RSRC2:USER_SGPR: 6
; COMPUTE_PGM_RSRC2:TRAP_HANDLER: 0
; COMPUTE_PGM_RSRC2:TGID_X_EN: 1
; COMPUTE_PGM_RSRC2:TGID_Y_EN: 0
; COMPUTE_PGM_RSRC2:TGID_Z_EN: 0
; COMPUTE_PGM_RSRC2:TIDIG_COMP_CNT: 0
	.section	.text._ZN9rocsparseL22bsrxmvn_general_kernelILj256ELj16E21rocsparse_complex_numIfEllS2_S2_S2_EEv20rocsparse_direction_NS_24const_host_device_scalarIT1_EET3_PKS7_PKT2_SC_S9_PKT4_S7_PKT5_S6_PT6_21rocsparse_index_base_b,"axG",@progbits,_ZN9rocsparseL22bsrxmvn_general_kernelILj256ELj16E21rocsparse_complex_numIfEllS2_S2_S2_EEv20rocsparse_direction_NS_24const_host_device_scalarIT1_EET3_PKS7_PKT2_SC_S9_PKT4_S7_PKT5_S6_PT6_21rocsparse_index_base_b,comdat
	.globl	_ZN9rocsparseL22bsrxmvn_general_kernelILj256ELj16E21rocsparse_complex_numIfEllS2_S2_S2_EEv20rocsparse_direction_NS_24const_host_device_scalarIT1_EET3_PKS7_PKT2_SC_S9_PKT4_S7_PKT5_S6_PT6_21rocsparse_index_base_b ; -- Begin function _ZN9rocsparseL22bsrxmvn_general_kernelILj256ELj16E21rocsparse_complex_numIfEllS2_S2_S2_EEv20rocsparse_direction_NS_24const_host_device_scalarIT1_EET3_PKS7_PKT2_SC_S9_PKT4_S7_PKT5_S6_PT6_21rocsparse_index_base_b
	.p2align	8
	.type	_ZN9rocsparseL22bsrxmvn_general_kernelILj256ELj16E21rocsparse_complex_numIfEllS2_S2_S2_EEv20rocsparse_direction_NS_24const_host_device_scalarIT1_EET3_PKS7_PKT2_SC_S9_PKT4_S7_PKT5_S6_PT6_21rocsparse_index_base_b,@function
_ZN9rocsparseL22bsrxmvn_general_kernelILj256ELj16E21rocsparse_complex_numIfEllS2_S2_S2_EEv20rocsparse_direction_NS_24const_host_device_scalarIT1_EET3_PKS7_PKT2_SC_S9_PKT4_S7_PKT5_S6_PT6_21rocsparse_index_base_b: ; @_ZN9rocsparseL22bsrxmvn_general_kernelILj256ELj16E21rocsparse_complex_numIfEllS2_S2_S2_EEv20rocsparse_direction_NS_24const_host_device_scalarIT1_EET3_PKS7_PKT2_SC_S9_PKT4_S7_PKT5_S6_PT6_21rocsparse_index_base_b
; %bb.0:
	s_clause 0x2
	s_load_dwordx2 s[16:17], s[4:5], 0x60
	s_load_dwordx2 s[0:1], s[4:5], 0x8
	;; [unrolled: 1-line block ×3, first 2 shown]
	s_add_u32 s7, s4, 8
	s_addc_u32 s8, s5, 0
	s_add_u32 s9, s4, 0x50
	s_addc_u32 s10, s5, 0
	s_waitcnt lgkmcnt(0)
	s_bitcmp1_b32 s17, 0
	s_cselect_b32 s0, s7, s0
	s_cselect_b32 s1, s8, s1
	v_mov_b32_e32 v1, s0
	v_mov_b32_e32 v2, s1
	s_cselect_b32 s0, s9, s2
	s_cselect_b32 s1, s10, s3
	v_mov_b32_e32 v3, s0
	v_mov_b32_e32 v4, s1
	flat_load_dwordx2 v[1:2], v[1:2]
	flat_load_dwordx2 v[3:4], v[3:4]
	s_waitcnt vmcnt(1) lgkmcnt(1)
	v_cmp_eq_f32_e32 vcc_lo, 0, v1
	v_cmp_eq_f32_e64 s0, 0, v2
	s_and_b32 s2, vcc_lo, s0
	s_mov_b32 s0, -1
	s_and_saveexec_b32 s1, s2
	s_cbranch_execz .LBB31_2
; %bb.1:
	s_waitcnt vmcnt(0) lgkmcnt(0)
	v_cmp_neq_f32_e32 vcc_lo, 1.0, v3
	v_cmp_neq_f32_e64 s0, 0, v4
	s_or_b32 s0, vcc_lo, s0
	s_orn2_b32 s0, s0, exec_lo
.LBB31_2:
	s_or_b32 exec_lo, exec_lo, s1
	s_and_saveexec_b32 s1, s0
	s_cbranch_execz .LBB31_24
; %bb.3:
	s_load_dwordx2 s[0:1], s[4:5], 0x18
	s_mov_b32 s7, 0
	s_waitcnt lgkmcnt(0)
	s_cmp_eq_u64 s[0:1], 0
	s_cbranch_scc1 .LBB31_5
; %bb.4:
	s_lshl_b64 s[2:3], s[6:7], 3
	s_add_u32 s0, s0, s2
	s_addc_u32 s1, s1, s3
	s_load_dwordx2 s[0:1], s[0:1], 0x0
	s_waitcnt lgkmcnt(0)
	s_sub_u32 s6, s0, s16
	s_subb_u32 s7, s1, 0
.LBB31_5:
	s_load_dwordx2 s[18:19], s[4:5], 0x40
	v_lshrrev_b32_e32 v5, 4, v0
	v_mov_b32_e32 v6, 0
	s_waitcnt lgkmcnt(0)
	v_cmp_gt_i64_e32 vcc_lo, s[18:19], v[5:6]
	s_and_b32 exec_lo, exec_lo, vcc_lo
	s_cbranch_execz .LBB31_24
; %bb.6:
	s_clause 0x2
	s_load_dwordx8 s[8:15], s[4:5], 0x20
	s_load_dwordx2 s[20:21], s[4:5], 0x58
	s_load_dwordx2 s[22:23], s[4:5], 0x48
	s_lshl_b64 s[24:25], s[6:7], 3
	v_and_b32_e32 v7, 15, v0
	v_mbcnt_lo_u32_b32 v0, -1, 0
	s_mul_i32 s30, s6, s19
	s_mul_hi_u32 s31, s6, s18
	s_mul_i32 s28, s6, s18
	s_mul_i32 s33, s7, s18
	v_xor_b32_e32 v9, 8, v0
	v_xor_b32_e32 v10, 4, v0
	;; [unrolled: 1-line block ×4, first 2 shown]
	v_lshlrev_b32_e32 v13, 3, v7
	v_cmp_gt_i32_e64 s3, 32, v9
	v_mov_b32_e32 v8, v6
	s_waitcnt vmcnt(0)
	v_cmp_eq_f32_e32 vcc_lo, 0, v3
	v_cmp_eq_f32_e64 s2, 0, v4
	s_mul_i32 s34, s18, s19
	s_waitcnt lgkmcnt(0)
	s_add_u32 s26, s8, s24
	s_addc_u32 s27, s9, s25
	s_load_dword s29, s[4:5], 0x0
	s_load_dwordx2 s[8:9], s[26:27], 0x0
	v_cndmask_b32_e64 v14, v0, v9, s3
	v_cmp_gt_i32_e64 s3, 32, v10
	s_mul_hi_u32 s35, s18, s18
	v_cmp_gt_u64_e64 s0, s[18:19], v[7:8]
	v_cmp_eq_u32_e64 s1, 15, v7
	s_mov_b32 s17, 0
	v_cndmask_b32_e64 v15, v0, v10, s3
	v_cmp_gt_i32_e64 s3, 32, v11
	v_lshlrev_b32_e32 v21, 2, v15
	v_cndmask_b32_e64 v11, v0, v11, s3
	v_cmp_gt_i32_e64 s3, 32, v12
	v_lshlrev_b32_e32 v22, 2, v11
	v_cndmask_b32_e64 v12, v0, v12, s3
	s_waitcnt lgkmcnt(0)
	s_sub_u32 s4, s8, s16
	s_subb_u32 s5, s9, 0
	s_add_u32 s6, s26, 8
	s_addc_u32 s7, s27, 0
	s_add_u32 s24, s10, s24
	s_addc_u32 s25, s11, s25
	s_cmp_eq_u64 s[10:11], 0
	v_mad_u64_u32 v[9:10], null, s18, s4, v[5:6]
	s_cselect_b32 s7, s7, s25
	s_cselect_b32 s6, s6, s24
	s_mul_i32 s3, s19, s4
	s_load_dwordx2 s[10:11], s[6:7], 0x0
	s_mul_i32 s6, s18, s5
	v_lshlrev_b32_e32 v23, 2, v12
	v_add3_u32 v11, s6, s3, v10
	v_add_co_u32 v12, s3, s22, v13
	v_add_co_ci_u32_e64 v13, null, s23, 0, s3
	v_lshlrev_b32_e32 v0, 2, v14
	v_mul_lo_u32 v14, s19, v9
	v_mad_u64_u32 v[9:10], null, s18, v9, 0
	v_mul_lo_u32 v15, s18, v11
	v_add_co_u32 v11, s3, v12, 4
	v_add_co_ci_u32_e64 v12, null, 0, v13, s3
	s_mul_i32 s27, s18, s18
	s_waitcnt lgkmcnt(0)
	s_sub_u32 s6, s10, s16
	s_subb_u32 s7, s11, 0
	s_cmp_lg_u32 s29, 0
	v_add3_u32 v10, v10, v15, v14
	s_cselect_b32 s3, -1, 0
	s_add_i32 s22, s31, s30
	s_and_b32 s23, vcc_lo, s2
	s_add_i32 s29, s22, s33
	v_cmp_lt_i64_e64 s22, s[8:9], s[10:11]
	s_lshl_b64 s[8:9], s[28:29], 3
	s_add_u32 s24, s20, s8
	s_addc_u32 s25, s21, s9
	s_add_i32 s2, s35, s34
	s_lshl_b64 s[8:9], s[18:19], 3
	s_lshl_b64 s[10:11], s[18:19], 4
	s_add_i32 s26, s2, s34
	s_branch .LBB31_8
.LBB31_7:                               ;   in Loop: Header=BB31_8 Depth=1
	s_or_b32 exec_lo, exec_lo, s2
	v_add_co_u32 v5, vcc_lo, v5, 16
	v_add_co_ci_u32_e64 v6, null, 0, v6, vcc_lo
	v_add_co_u32 v9, s2, v9, s10
	v_add_co_ci_u32_e64 v10, null, s11, v10, s2
	v_cmp_le_i64_e32 vcc_lo, s[18:19], v[5:6]
	s_or_b32 s17, vcc_lo, s17
	s_andn2_b32 exec_lo, exec_lo, s17
	s_cbranch_execz .LBB31_24
.LBB31_8:                               ; =>This Loop Header: Depth=1
                                        ;     Child Loop BB31_12 Depth 2
                                        ;       Child Loop BB31_15 Depth 3
	v_mov_b32_e32 v24, 0
	v_mov_b32_e32 v25, 0
	s_andn2_b32 vcc_lo, exec_lo, s22
	s_cbranch_vccnz .LBB31_19
; %bb.9:                                ;   in Loop: Header=BB31_8 Depth=1
	s_waitcnt lgkmcnt(1)
	v_mov_b32_e32 v14, v10
	v_mov_b32_e32 v24, 0
	;; [unrolled: 1-line block ×4, first 2 shown]
	s_mov_b64 s[20:21], s[4:5]
	s_branch .LBB31_12
.LBB31_10:                              ;   in Loop: Header=BB31_12 Depth=2
	s_or_b32 exec_lo, exec_lo, s30
.LBB31_11:                              ;   in Loop: Header=BB31_12 Depth=2
	s_or_b32 exec_lo, exec_lo, s28
	s_add_u32 s20, s20, 1
	s_addc_u32 s21, s21, 0
	v_add_co_u32 v13, vcc_lo, v13, s27
	v_cmp_ge_i64_e64 s2, s[20:21], s[6:7]
	v_add_co_ci_u32_e64 v14, null, s26, v14, vcc_lo
	s_and_b32 vcc_lo, exec_lo, s2
	s_cbranch_vccnz .LBB31_19
.LBB31_12:                              ;   Parent Loop BB31_8 Depth=1
                                        ; =>  This Loop Header: Depth=2
                                        ;       Child Loop BB31_15 Depth 3
	s_and_saveexec_b32 s28, s0
	s_cbranch_execz .LBB31_11
; %bb.13:                               ;   in Loop: Header=BB31_12 Depth=2
	s_lshl_b64 s[30:31], s[20:21], 3
	s_mul_i32 s29, s20, s19
	s_add_u32 s30, s12, s30
	s_addc_u32 s31, s13, s31
	v_mov_b32_e32 v18, v8
	s_load_dwordx2 s[30:31], s[30:31], 0x0
	v_mov_b32_e32 v17, v7
	s_mul_i32 s33, s21, s18
	s_waitcnt lgkmcnt(0)
	s_sub_u32 s2, s30, s16
	s_subb_u32 s31, s31, 0
	v_mad_u64_u32 v[15:16], null, s8, s2, v[11:12]
	s_mul_i32 s2, s9, s2
	s_mul_i32 s31, s8, s31
	s_mul_hi_u32 s30, s20, s18
	s_add_i32 s29, s30, s29
	s_mov_b32 s30, 0
	v_add3_u32 v16, s31, s2, v16
	s_add_i32 s29, s29, s33
	s_mul_i32 s31, s20, s18
	s_branch .LBB31_15
.LBB31_14:                              ;   in Loop: Header=BB31_15 Depth=3
	v_lshlrev_b64 v[19:20], 3, v[19:20]
	v_add_co_u32 v19, vcc_lo, s14, v19
	v_add_co_ci_u32_e64 v20, null, s15, v20, vcc_lo
	v_add_co_u32 v17, vcc_lo, v17, 16
	global_load_dwordx2 v[26:27], v[15:16], off offset:-4
	global_load_dwordx2 v[19:20], v[19:20], off
	v_add_co_ci_u32_e64 v18, null, 0, v18, vcc_lo
	v_add_co_u32 v15, s2, 0x80, v15
	v_add_co_ci_u32_e64 v16, null, 0, v16, s2
	v_cmp_le_i64_e32 vcc_lo, s[18:19], v[17:18]
	s_or_b32 s30, vcc_lo, s30
	s_waitcnt vmcnt(0)
	v_fmac_f32_e32 v25, v19, v26
	v_fmac_f32_e32 v24, v20, v26
	v_fma_f32 v25, -v20, v27, v25
	v_fmac_f32_e32 v24, v19, v27
	s_andn2_b32 exec_lo, exec_lo, s30
	s_cbranch_execz .LBB31_10
.LBB31_15:                              ;   Parent Loop BB31_8 Depth=1
                                        ;     Parent Loop BB31_12 Depth=2
                                        ; =>    This Inner Loop Header: Depth=3
	s_and_b32 vcc_lo, exec_lo, s3
	s_cbranch_vccz .LBB31_17
; %bb.16:                               ;   in Loop: Header=BB31_15 Depth=3
	v_add_co_u32 v19, vcc_lo, v17, s31
	v_add_co_ci_u32_e64 v20, null, s29, v18, vcc_lo
	v_mul_lo_u32 v26, v19, s19
	v_mul_lo_u32 v27, v20, s18
	v_mad_u64_u32 v[19:20], null, v19, s18, v[5:6]
	v_add3_u32 v20, v27, v20, v26
	s_cbranch_execnz .LBB31_14
	s_branch .LBB31_18
.LBB31_17:                              ;   in Loop: Header=BB31_15 Depth=3
                                        ; implicit-def: $vgpr19_vgpr20
.LBB31_18:                              ;   in Loop: Header=BB31_15 Depth=3
	v_add_co_u32 v19, vcc_lo, v13, v17
	v_add_co_ci_u32_e64 v20, null, v14, v18, vcc_lo
	s_branch .LBB31_14
.LBB31_19:                              ;   in Loop: Header=BB31_8 Depth=1
	ds_bpermute_b32 v13, v0, v25
	s_waitcnt lgkmcnt(2)
	ds_bpermute_b32 v14, v0, v24
	s_waitcnt lgkmcnt(1)
	v_add_f32_e32 v13, v25, v13
	s_waitcnt lgkmcnt(0)
	v_add_f32_e32 v14, v24, v14
	ds_bpermute_b32 v15, v21, v13
	ds_bpermute_b32 v16, v21, v14
	s_waitcnt lgkmcnt(1)
	v_add_f32_e32 v13, v13, v15
	s_waitcnt lgkmcnt(0)
	v_add_f32_e32 v14, v14, v16
	ds_bpermute_b32 v15, v22, v13
	;; [unrolled: 6-line block ×3, first 2 shown]
	ds_bpermute_b32 v16, v23, v15
	s_and_saveexec_b32 s2, s1
	s_cbranch_execz .LBB31_7
; %bb.20:                               ;   in Loop: Header=BB31_8 Depth=1
	s_waitcnt lgkmcnt(0)
	v_add_f32_e32 v15, v15, v16
	v_add_f32_e32 v17, v13, v14
	v_mul_f32_e64 v13, v15, -v2
	v_mul_f32_e32 v14, v1, v15
	v_lshlrev_b64 v[15:16], 3, v[5:6]
	v_fmac_f32_e32 v13, v1, v17
	v_fmac_f32_e32 v14, v2, v17
	s_and_saveexec_b32 s20, s23
	s_xor_b32 s20, exec_lo, s20
	s_cbranch_execz .LBB31_22
; %bb.21:                               ;   in Loop: Header=BB31_8 Depth=1
	v_add_co_u32 v15, vcc_lo, s24, v15
	v_add_co_ci_u32_e64 v16, null, s25, v16, vcc_lo
	global_store_dwordx2 v[15:16], v[13:14], off
                                        ; implicit-def: $vgpr15_vgpr16
                                        ; implicit-def: $vgpr13
.LBB31_22:                              ;   in Loop: Header=BB31_8 Depth=1
	s_andn2_saveexec_b32 s20, s20
	s_cbranch_execz .LBB31_7
; %bb.23:                               ;   in Loop: Header=BB31_8 Depth=1
	v_add_co_u32 v15, vcc_lo, s24, v15
	v_add_co_ci_u32_e64 v16, null, s25, v16, vcc_lo
	global_load_dwordx2 v[17:18], v[15:16], off
	s_waitcnt vmcnt(0)
	v_fmac_f32_e32 v13, v3, v17
	v_fmac_f32_e32 v14, v4, v17
	v_fma_f32 v13, -v4, v18, v13
	v_fmac_f32_e32 v14, v3, v18
	global_store_dwordx2 v[15:16], v[13:14], off
	s_branch .LBB31_7
.LBB31_24:
	s_endpgm
	.section	.rodata,"a",@progbits
	.p2align	6, 0x0
	.amdhsa_kernel _ZN9rocsparseL22bsrxmvn_general_kernelILj256ELj16E21rocsparse_complex_numIfEllS2_S2_S2_EEv20rocsparse_direction_NS_24const_host_device_scalarIT1_EET3_PKS7_PKT2_SC_S9_PKT4_S7_PKT5_S6_PT6_21rocsparse_index_base_b
		.amdhsa_group_segment_fixed_size 0
		.amdhsa_private_segment_fixed_size 0
		.amdhsa_kernarg_size 104
		.amdhsa_user_sgpr_count 6
		.amdhsa_user_sgpr_private_segment_buffer 1
		.amdhsa_user_sgpr_dispatch_ptr 0
		.amdhsa_user_sgpr_queue_ptr 0
		.amdhsa_user_sgpr_kernarg_segment_ptr 1
		.amdhsa_user_sgpr_dispatch_id 0
		.amdhsa_user_sgpr_flat_scratch_init 0
		.amdhsa_user_sgpr_private_segment_size 0
		.amdhsa_wavefront_size32 1
		.amdhsa_uses_dynamic_stack 0
		.amdhsa_system_sgpr_private_segment_wavefront_offset 0
		.amdhsa_system_sgpr_workgroup_id_x 1
		.amdhsa_system_sgpr_workgroup_id_y 0
		.amdhsa_system_sgpr_workgroup_id_z 0
		.amdhsa_system_sgpr_workgroup_info 0
		.amdhsa_system_vgpr_workitem_id 0
		.amdhsa_next_free_vgpr 28
		.amdhsa_next_free_sgpr 36
		.amdhsa_reserve_vcc 1
		.amdhsa_reserve_flat_scratch 0
		.amdhsa_float_round_mode_32 0
		.amdhsa_float_round_mode_16_64 0
		.amdhsa_float_denorm_mode_32 3
		.amdhsa_float_denorm_mode_16_64 3
		.amdhsa_dx10_clamp 1
		.amdhsa_ieee_mode 1
		.amdhsa_fp16_overflow 0
		.amdhsa_workgroup_processor_mode 1
		.amdhsa_memory_ordered 1
		.amdhsa_forward_progress 1
		.amdhsa_shared_vgpr_count 0
		.amdhsa_exception_fp_ieee_invalid_op 0
		.amdhsa_exception_fp_denorm_src 0
		.amdhsa_exception_fp_ieee_div_zero 0
		.amdhsa_exception_fp_ieee_overflow 0
		.amdhsa_exception_fp_ieee_underflow 0
		.amdhsa_exception_fp_ieee_inexact 0
		.amdhsa_exception_int_div_zero 0
	.end_amdhsa_kernel
	.section	.text._ZN9rocsparseL22bsrxmvn_general_kernelILj256ELj16E21rocsparse_complex_numIfEllS2_S2_S2_EEv20rocsparse_direction_NS_24const_host_device_scalarIT1_EET3_PKS7_PKT2_SC_S9_PKT4_S7_PKT5_S6_PT6_21rocsparse_index_base_b,"axG",@progbits,_ZN9rocsparseL22bsrxmvn_general_kernelILj256ELj16E21rocsparse_complex_numIfEllS2_S2_S2_EEv20rocsparse_direction_NS_24const_host_device_scalarIT1_EET3_PKS7_PKT2_SC_S9_PKT4_S7_PKT5_S6_PT6_21rocsparse_index_base_b,comdat
.Lfunc_end31:
	.size	_ZN9rocsparseL22bsrxmvn_general_kernelILj256ELj16E21rocsparse_complex_numIfEllS2_S2_S2_EEv20rocsparse_direction_NS_24const_host_device_scalarIT1_EET3_PKS7_PKT2_SC_S9_PKT4_S7_PKT5_S6_PT6_21rocsparse_index_base_b, .Lfunc_end31-_ZN9rocsparseL22bsrxmvn_general_kernelILj256ELj16E21rocsparse_complex_numIfEllS2_S2_S2_EEv20rocsparse_direction_NS_24const_host_device_scalarIT1_EET3_PKS7_PKT2_SC_S9_PKT4_S7_PKT5_S6_PT6_21rocsparse_index_base_b
                                        ; -- End function
	.set _ZN9rocsparseL22bsrxmvn_general_kernelILj256ELj16E21rocsparse_complex_numIfEllS2_S2_S2_EEv20rocsparse_direction_NS_24const_host_device_scalarIT1_EET3_PKS7_PKT2_SC_S9_PKT4_S7_PKT5_S6_PT6_21rocsparse_index_base_b.num_vgpr, 28
	.set _ZN9rocsparseL22bsrxmvn_general_kernelILj256ELj16E21rocsparse_complex_numIfEllS2_S2_S2_EEv20rocsparse_direction_NS_24const_host_device_scalarIT1_EET3_PKS7_PKT2_SC_S9_PKT4_S7_PKT5_S6_PT6_21rocsparse_index_base_b.num_agpr, 0
	.set _ZN9rocsparseL22bsrxmvn_general_kernelILj256ELj16E21rocsparse_complex_numIfEllS2_S2_S2_EEv20rocsparse_direction_NS_24const_host_device_scalarIT1_EET3_PKS7_PKT2_SC_S9_PKT4_S7_PKT5_S6_PT6_21rocsparse_index_base_b.numbered_sgpr, 36
	.set _ZN9rocsparseL22bsrxmvn_general_kernelILj256ELj16E21rocsparse_complex_numIfEllS2_S2_S2_EEv20rocsparse_direction_NS_24const_host_device_scalarIT1_EET3_PKS7_PKT2_SC_S9_PKT4_S7_PKT5_S6_PT6_21rocsparse_index_base_b.num_named_barrier, 0
	.set _ZN9rocsparseL22bsrxmvn_general_kernelILj256ELj16E21rocsparse_complex_numIfEllS2_S2_S2_EEv20rocsparse_direction_NS_24const_host_device_scalarIT1_EET3_PKS7_PKT2_SC_S9_PKT4_S7_PKT5_S6_PT6_21rocsparse_index_base_b.private_seg_size, 0
	.set _ZN9rocsparseL22bsrxmvn_general_kernelILj256ELj16E21rocsparse_complex_numIfEllS2_S2_S2_EEv20rocsparse_direction_NS_24const_host_device_scalarIT1_EET3_PKS7_PKT2_SC_S9_PKT4_S7_PKT5_S6_PT6_21rocsparse_index_base_b.uses_vcc, 1
	.set _ZN9rocsparseL22bsrxmvn_general_kernelILj256ELj16E21rocsparse_complex_numIfEllS2_S2_S2_EEv20rocsparse_direction_NS_24const_host_device_scalarIT1_EET3_PKS7_PKT2_SC_S9_PKT4_S7_PKT5_S6_PT6_21rocsparse_index_base_b.uses_flat_scratch, 0
	.set _ZN9rocsparseL22bsrxmvn_general_kernelILj256ELj16E21rocsparse_complex_numIfEllS2_S2_S2_EEv20rocsparse_direction_NS_24const_host_device_scalarIT1_EET3_PKS7_PKT2_SC_S9_PKT4_S7_PKT5_S6_PT6_21rocsparse_index_base_b.has_dyn_sized_stack, 0
	.set _ZN9rocsparseL22bsrxmvn_general_kernelILj256ELj16E21rocsparse_complex_numIfEllS2_S2_S2_EEv20rocsparse_direction_NS_24const_host_device_scalarIT1_EET3_PKS7_PKT2_SC_S9_PKT4_S7_PKT5_S6_PT6_21rocsparse_index_base_b.has_recursion, 0
	.set _ZN9rocsparseL22bsrxmvn_general_kernelILj256ELj16E21rocsparse_complex_numIfEllS2_S2_S2_EEv20rocsparse_direction_NS_24const_host_device_scalarIT1_EET3_PKS7_PKT2_SC_S9_PKT4_S7_PKT5_S6_PT6_21rocsparse_index_base_b.has_indirect_call, 0
	.section	.AMDGPU.csdata,"",@progbits
; Kernel info:
; codeLenInByte = 1428
; TotalNumSgprs: 38
; NumVgprs: 28
; ScratchSize: 0
; MemoryBound: 0
; FloatMode: 240
; IeeeMode: 1
; LDSByteSize: 0 bytes/workgroup (compile time only)
; SGPRBlocks: 0
; VGPRBlocks: 3
; NumSGPRsForWavesPerEU: 38
; NumVGPRsForWavesPerEU: 28
; Occupancy: 16
; WaveLimiterHint : 0
; COMPUTE_PGM_RSRC2:SCRATCH_EN: 0
; COMPUTE_PGM_RSRC2:USER_SGPR: 6
; COMPUTE_PGM_RSRC2:TRAP_HANDLER: 0
; COMPUTE_PGM_RSRC2:TGID_X_EN: 1
; COMPUTE_PGM_RSRC2:TGID_Y_EN: 0
; COMPUTE_PGM_RSRC2:TGID_Z_EN: 0
; COMPUTE_PGM_RSRC2:TIDIG_COMP_CNT: 0
	.section	.text._ZN9rocsparseL22bsrxmvn_general_kernelILj1024ELj32E21rocsparse_complex_numIfEllS2_S2_S2_EEv20rocsparse_direction_NS_24const_host_device_scalarIT1_EET3_PKS7_PKT2_SC_S9_PKT4_S7_PKT5_S6_PT6_21rocsparse_index_base_b,"axG",@progbits,_ZN9rocsparseL22bsrxmvn_general_kernelILj1024ELj32E21rocsparse_complex_numIfEllS2_S2_S2_EEv20rocsparse_direction_NS_24const_host_device_scalarIT1_EET3_PKS7_PKT2_SC_S9_PKT4_S7_PKT5_S6_PT6_21rocsparse_index_base_b,comdat
	.globl	_ZN9rocsparseL22bsrxmvn_general_kernelILj1024ELj32E21rocsparse_complex_numIfEllS2_S2_S2_EEv20rocsparse_direction_NS_24const_host_device_scalarIT1_EET3_PKS7_PKT2_SC_S9_PKT4_S7_PKT5_S6_PT6_21rocsparse_index_base_b ; -- Begin function _ZN9rocsparseL22bsrxmvn_general_kernelILj1024ELj32E21rocsparse_complex_numIfEllS2_S2_S2_EEv20rocsparse_direction_NS_24const_host_device_scalarIT1_EET3_PKS7_PKT2_SC_S9_PKT4_S7_PKT5_S6_PT6_21rocsparse_index_base_b
	.p2align	8
	.type	_ZN9rocsparseL22bsrxmvn_general_kernelILj1024ELj32E21rocsparse_complex_numIfEllS2_S2_S2_EEv20rocsparse_direction_NS_24const_host_device_scalarIT1_EET3_PKS7_PKT2_SC_S9_PKT4_S7_PKT5_S6_PT6_21rocsparse_index_base_b,@function
_ZN9rocsparseL22bsrxmvn_general_kernelILj1024ELj32E21rocsparse_complex_numIfEllS2_S2_S2_EEv20rocsparse_direction_NS_24const_host_device_scalarIT1_EET3_PKS7_PKT2_SC_S9_PKT4_S7_PKT5_S6_PT6_21rocsparse_index_base_b: ; @_ZN9rocsparseL22bsrxmvn_general_kernelILj1024ELj32E21rocsparse_complex_numIfEllS2_S2_S2_EEv20rocsparse_direction_NS_24const_host_device_scalarIT1_EET3_PKS7_PKT2_SC_S9_PKT4_S7_PKT5_S6_PT6_21rocsparse_index_base_b
; %bb.0:
	s_clause 0x2
	s_load_dwordx2 s[16:17], s[4:5], 0x60
	s_load_dwordx2 s[0:1], s[4:5], 0x8
	;; [unrolled: 1-line block ×3, first 2 shown]
	s_add_u32 s7, s4, 8
	s_addc_u32 s8, s5, 0
	s_add_u32 s9, s4, 0x50
	s_addc_u32 s10, s5, 0
	s_waitcnt lgkmcnt(0)
	s_bitcmp1_b32 s17, 0
	s_cselect_b32 s0, s7, s0
	s_cselect_b32 s1, s8, s1
	v_mov_b32_e32 v1, s0
	v_mov_b32_e32 v2, s1
	s_cselect_b32 s0, s9, s2
	s_cselect_b32 s1, s10, s3
	v_mov_b32_e32 v3, s0
	v_mov_b32_e32 v4, s1
	flat_load_dwordx2 v[1:2], v[1:2]
	flat_load_dwordx2 v[3:4], v[3:4]
	s_waitcnt vmcnt(1) lgkmcnt(1)
	v_cmp_eq_f32_e32 vcc_lo, 0, v1
	v_cmp_eq_f32_e64 s0, 0, v2
	s_and_b32 s2, vcc_lo, s0
	s_mov_b32 s0, -1
	s_and_saveexec_b32 s1, s2
	s_cbranch_execz .LBB32_2
; %bb.1:
	s_waitcnt vmcnt(0) lgkmcnt(0)
	v_cmp_neq_f32_e32 vcc_lo, 1.0, v3
	v_cmp_neq_f32_e64 s0, 0, v4
	s_or_b32 s0, vcc_lo, s0
	s_orn2_b32 s0, s0, exec_lo
.LBB32_2:
	s_or_b32 exec_lo, exec_lo, s1
	s_and_saveexec_b32 s1, s0
	s_cbranch_execz .LBB32_24
; %bb.3:
	s_load_dwordx2 s[0:1], s[4:5], 0x18
	s_mov_b32 s7, 0
	s_waitcnt lgkmcnt(0)
	s_cmp_eq_u64 s[0:1], 0
	s_cbranch_scc1 .LBB32_5
; %bb.4:
	s_lshl_b64 s[2:3], s[6:7], 3
	s_add_u32 s0, s0, s2
	s_addc_u32 s1, s1, s3
	s_load_dwordx2 s[0:1], s[0:1], 0x0
	s_waitcnt lgkmcnt(0)
	s_sub_u32 s6, s0, s16
	s_subb_u32 s7, s1, 0
.LBB32_5:
	s_load_dwordx2 s[18:19], s[4:5], 0x40
	v_lshrrev_b32_e32 v5, 5, v0
	v_mov_b32_e32 v6, 0
	s_waitcnt lgkmcnt(0)
	v_cmp_gt_i64_e32 vcc_lo, s[18:19], v[5:6]
	s_and_b32 exec_lo, exec_lo, vcc_lo
	s_cbranch_execz .LBB32_24
; %bb.6:
	s_clause 0x2
	s_load_dwordx8 s[8:15], s[4:5], 0x20
	s_load_dwordx2 s[20:21], s[4:5], 0x58
	s_load_dwordx2 s[22:23], s[4:5], 0x48
	s_lshl_b64 s[24:25], s[6:7], 3
	v_and_b32_e32 v7, 31, v0
	v_mbcnt_lo_u32_b32 v0, -1, 0
	s_load_dword s29, s[4:5], 0x0
	s_mul_i32 s30, s6, s19
	s_mul_hi_u32 s31, s6, s18
	s_mul_i32 s28, s6, s18
	v_xor_b32_e32 v9, 16, v0
	v_xor_b32_e32 v10, 8, v0
	s_mul_i32 s33, s7, s18
	v_xor_b32_e32 v11, 4, v0
	v_xor_b32_e32 v12, 2, v0
	v_cmp_gt_i32_e64 s3, 32, v9
	v_xor_b32_e32 v13, 1, v0
	v_lshlrev_b32_e32 v14, 3, v7
	v_mov_b32_e32 v8, v6
	s_waitcnt vmcnt(0)
	v_cmp_eq_f32_e32 vcc_lo, 0, v3
	s_waitcnt lgkmcnt(0)
	s_add_u32 s8, s8, s24
	s_addc_u32 s9, s9, s25
	v_cndmask_b32_e64 v15, v0, v9, s3
	s_load_dwordx2 s[26:27], s[8:9], 0x0
	v_cmp_gt_i32_e64 s3, 32, v10
	v_cmp_eq_f32_e64 s2, 0, v4
	s_mul_i32 s34, s18, s19
	s_mul_hi_u32 s35, s18, s18
	v_cmp_gt_u64_e64 s0, s[18:19], v[7:8]
	v_cndmask_b32_e64 v16, v0, v10, s3
	v_cmp_gt_i32_e64 s3, 32, v11
	v_cmp_eq_u32_e64 s1, 31, v7
	s_mov_b32 s17, 0
	v_lshlrev_b32_e32 v21, 2, v16
	v_cndmask_b32_e64 v11, v0, v11, s3
	v_cmp_gt_i32_e64 s3, 32, v12
	v_lshlrev_b32_e32 v22, 2, v11
	v_cndmask_b32_e64 v12, v0, v12, s3
	v_cmp_gt_i32_e64 s3, 32, v13
	s_waitcnt lgkmcnt(0)
	s_sub_u32 s4, s26, s16
	s_subb_u32 s5, s27, 0
	s_add_u32 s6, s8, 8
	s_addc_u32 s7, s9, 0
	s_add_u32 s8, s10, s24
	s_addc_u32 s9, s11, s25
	s_cmp_eq_u64 s[10:11], 0
	v_mad_u64_u32 v[9:10], null, s18, s4, v[5:6]
	s_cselect_b32 s7, s7, s9
	s_cselect_b32 s6, s6, s8
	v_cndmask_b32_e64 v13, v0, v13, s3
	s_load_dwordx2 s[8:9], s[6:7], 0x0
	s_mul_i32 s3, s19, s4
	s_mul_i32 s6, s18, s5
	v_lshlrev_b32_e32 v23, 2, v12
	v_add3_u32 v11, s6, s3, v10
	v_add_co_u32 v12, s3, s22, v14
	v_lshlrev_b32_e32 v24, 2, v13
	v_add_co_ci_u32_e64 v13, null, s23, 0, s3
	v_lshlrev_b32_e32 v0, 2, v15
	v_mul_lo_u32 v14, s19, v9
	v_mad_u64_u32 v[9:10], null, s18, v9, 0
	v_mul_lo_u32 v15, s18, v11
	v_add_co_u32 v11, s3, v12, 4
	v_add_co_ci_u32_e64 v12, null, 0, v13, s3
	s_waitcnt lgkmcnt(0)
	s_sub_u32 s6, s8, s16
	s_subb_u32 s7, s9, 0
	s_cmp_lg_u32 s29, 0
	v_cmp_lt_i64_e64 s22, s[26:27], s[8:9]
	s_cselect_b32 s3, -1, 0
	s_add_i32 s10, s31, s30
	s_and_b32 s23, vcc_lo, s2
	s_add_i32 s29, s10, s33
	v_add3_u32 v10, v10, v15, v14
	s_lshl_b64 s[8:9], s[28:29], 3
	s_mul_i32 s27, s18, s18
	s_add_u32 s24, s20, s8
	s_addc_u32 s25, s21, s9
	s_add_i32 s2, s35, s34
	s_lshl_b64 s[8:9], s[18:19], 3
	s_lshl_b64 s[10:11], s[18:19], 5
	s_add_i32 s26, s2, s34
	s_branch .LBB32_8
.LBB32_7:                               ;   in Loop: Header=BB32_8 Depth=1
	s_or_b32 exec_lo, exec_lo, s2
	v_add_co_u32 v5, vcc_lo, v5, 32
	v_add_co_ci_u32_e64 v6, null, 0, v6, vcc_lo
	v_add_co_u32 v9, s2, v9, s10
	v_add_co_ci_u32_e64 v10, null, s11, v10, s2
	v_cmp_le_i64_e32 vcc_lo, s[18:19], v[5:6]
	s_or_b32 s17, vcc_lo, s17
	s_andn2_b32 exec_lo, exec_lo, s17
	s_cbranch_execz .LBB32_24
.LBB32_8:                               ; =>This Loop Header: Depth=1
                                        ;     Child Loop BB32_12 Depth 2
                                        ;       Child Loop BB32_15 Depth 3
	v_mov_b32_e32 v25, 0
	v_mov_b32_e32 v26, 0
	s_andn2_b32 vcc_lo, exec_lo, s22
	s_cbranch_vccnz .LBB32_19
; %bb.9:                                ;   in Loop: Header=BB32_8 Depth=1
	s_waitcnt lgkmcnt(1)
	v_mov_b32_e32 v14, v10
	v_mov_b32_e32 v25, 0
	;; [unrolled: 1-line block ×4, first 2 shown]
	s_mov_b64 s[20:21], s[4:5]
	s_branch .LBB32_12
.LBB32_10:                              ;   in Loop: Header=BB32_12 Depth=2
	s_or_b32 exec_lo, exec_lo, s30
.LBB32_11:                              ;   in Loop: Header=BB32_12 Depth=2
	s_or_b32 exec_lo, exec_lo, s28
	s_add_u32 s20, s20, 1
	s_addc_u32 s21, s21, 0
	v_add_co_u32 v13, vcc_lo, v13, s27
	v_cmp_ge_i64_e64 s2, s[20:21], s[6:7]
	v_add_co_ci_u32_e64 v14, null, s26, v14, vcc_lo
	s_and_b32 vcc_lo, exec_lo, s2
	s_cbranch_vccnz .LBB32_19
.LBB32_12:                              ;   Parent Loop BB32_8 Depth=1
                                        ; =>  This Loop Header: Depth=2
                                        ;       Child Loop BB32_15 Depth 3
	s_and_saveexec_b32 s28, s0
	s_cbranch_execz .LBB32_11
; %bb.13:                               ;   in Loop: Header=BB32_12 Depth=2
	s_lshl_b64 s[30:31], s[20:21], 3
	s_mul_i32 s29, s20, s19
	s_add_u32 s30, s12, s30
	s_addc_u32 s31, s13, s31
	v_mov_b32_e32 v18, v8
	s_load_dwordx2 s[30:31], s[30:31], 0x0
	v_mov_b32_e32 v17, v7
	s_mul_i32 s33, s21, s18
	s_waitcnt lgkmcnt(0)
	s_sub_u32 s2, s30, s16
	s_subb_u32 s31, s31, 0
	v_mad_u64_u32 v[15:16], null, s8, s2, v[11:12]
	s_mul_i32 s2, s9, s2
	s_mul_i32 s31, s8, s31
	s_mul_hi_u32 s30, s20, s18
	s_add_i32 s29, s30, s29
	s_mov_b32 s30, 0
	v_add3_u32 v16, s31, s2, v16
	s_add_i32 s29, s29, s33
	s_mul_i32 s31, s20, s18
	s_branch .LBB32_15
.LBB32_14:                              ;   in Loop: Header=BB32_15 Depth=3
	v_lshlrev_b64 v[19:20], 3, v[19:20]
	v_add_co_u32 v19, vcc_lo, s14, v19
	v_add_co_ci_u32_e64 v20, null, s15, v20, vcc_lo
	v_add_co_u32 v17, vcc_lo, v17, 32
	global_load_dwordx2 v[27:28], v[15:16], off offset:-4
	global_load_dwordx2 v[19:20], v[19:20], off
	v_add_co_ci_u32_e64 v18, null, 0, v18, vcc_lo
	v_add_co_u32 v15, s2, 0x100, v15
	v_add_co_ci_u32_e64 v16, null, 0, v16, s2
	v_cmp_le_i64_e32 vcc_lo, s[18:19], v[17:18]
	s_or_b32 s30, vcc_lo, s30
	s_waitcnt vmcnt(0)
	v_fmac_f32_e32 v26, v19, v27
	v_fmac_f32_e32 v25, v20, v27
	v_fma_f32 v26, -v20, v28, v26
	v_fmac_f32_e32 v25, v19, v28
	s_andn2_b32 exec_lo, exec_lo, s30
	s_cbranch_execz .LBB32_10
.LBB32_15:                              ;   Parent Loop BB32_8 Depth=1
                                        ;     Parent Loop BB32_12 Depth=2
                                        ; =>    This Inner Loop Header: Depth=3
	s_and_b32 vcc_lo, exec_lo, s3
	s_cbranch_vccz .LBB32_17
; %bb.16:                               ;   in Loop: Header=BB32_15 Depth=3
	v_add_co_u32 v19, vcc_lo, v17, s31
	v_add_co_ci_u32_e64 v20, null, s29, v18, vcc_lo
	v_mul_lo_u32 v27, v19, s19
	v_mul_lo_u32 v28, v20, s18
	v_mad_u64_u32 v[19:20], null, v19, s18, v[5:6]
	v_add3_u32 v20, v28, v20, v27
	s_cbranch_execnz .LBB32_14
	s_branch .LBB32_18
.LBB32_17:                              ;   in Loop: Header=BB32_15 Depth=3
                                        ; implicit-def: $vgpr19_vgpr20
.LBB32_18:                              ;   in Loop: Header=BB32_15 Depth=3
	v_add_co_u32 v19, vcc_lo, v13, v17
	v_add_co_ci_u32_e64 v20, null, v14, v18, vcc_lo
	s_branch .LBB32_14
.LBB32_19:                              ;   in Loop: Header=BB32_8 Depth=1
	ds_bpermute_b32 v13, v0, v26
	s_waitcnt lgkmcnt(2)
	ds_bpermute_b32 v14, v0, v25
	s_waitcnt lgkmcnt(1)
	v_add_f32_e32 v13, v26, v13
	s_waitcnt lgkmcnt(0)
	v_add_f32_e32 v14, v25, v14
	ds_bpermute_b32 v15, v21, v13
	ds_bpermute_b32 v16, v21, v14
	s_waitcnt lgkmcnt(1)
	v_add_f32_e32 v13, v13, v15
	s_waitcnt lgkmcnt(0)
	v_add_f32_e32 v14, v14, v16
	ds_bpermute_b32 v15, v22, v13
	;; [unrolled: 6-line block ×4, first 2 shown]
	ds_bpermute_b32 v16, v24, v15
	s_and_saveexec_b32 s2, s1
	s_cbranch_execz .LBB32_7
; %bb.20:                               ;   in Loop: Header=BB32_8 Depth=1
	s_waitcnt lgkmcnt(0)
	v_add_f32_e32 v15, v15, v16
	v_add_f32_e32 v17, v13, v14
	v_mul_f32_e64 v13, v15, -v2
	v_mul_f32_e32 v14, v1, v15
	v_lshlrev_b64 v[15:16], 3, v[5:6]
	v_fmac_f32_e32 v13, v1, v17
	v_fmac_f32_e32 v14, v2, v17
	s_and_saveexec_b32 s20, s23
	s_xor_b32 s20, exec_lo, s20
	s_cbranch_execz .LBB32_22
; %bb.21:                               ;   in Loop: Header=BB32_8 Depth=1
	v_add_co_u32 v15, vcc_lo, s24, v15
	v_add_co_ci_u32_e64 v16, null, s25, v16, vcc_lo
	global_store_dwordx2 v[15:16], v[13:14], off
                                        ; implicit-def: $vgpr15_vgpr16
                                        ; implicit-def: $vgpr13
.LBB32_22:                              ;   in Loop: Header=BB32_8 Depth=1
	s_andn2_saveexec_b32 s20, s20
	s_cbranch_execz .LBB32_7
; %bb.23:                               ;   in Loop: Header=BB32_8 Depth=1
	v_add_co_u32 v15, vcc_lo, s24, v15
	v_add_co_ci_u32_e64 v16, null, s25, v16, vcc_lo
	global_load_dwordx2 v[17:18], v[15:16], off
	s_waitcnt vmcnt(0)
	v_fmac_f32_e32 v13, v3, v17
	v_fmac_f32_e32 v14, v4, v17
	v_fma_f32 v13, -v4, v18, v13
	v_fmac_f32_e32 v14, v3, v18
	global_store_dwordx2 v[15:16], v[13:14], off
	s_branch .LBB32_7
.LBB32_24:
	s_endpgm
	.section	.rodata,"a",@progbits
	.p2align	6, 0x0
	.amdhsa_kernel _ZN9rocsparseL22bsrxmvn_general_kernelILj1024ELj32E21rocsparse_complex_numIfEllS2_S2_S2_EEv20rocsparse_direction_NS_24const_host_device_scalarIT1_EET3_PKS7_PKT2_SC_S9_PKT4_S7_PKT5_S6_PT6_21rocsparse_index_base_b
		.amdhsa_group_segment_fixed_size 0
		.amdhsa_private_segment_fixed_size 0
		.amdhsa_kernarg_size 104
		.amdhsa_user_sgpr_count 6
		.amdhsa_user_sgpr_private_segment_buffer 1
		.amdhsa_user_sgpr_dispatch_ptr 0
		.amdhsa_user_sgpr_queue_ptr 0
		.amdhsa_user_sgpr_kernarg_segment_ptr 1
		.amdhsa_user_sgpr_dispatch_id 0
		.amdhsa_user_sgpr_flat_scratch_init 0
		.amdhsa_user_sgpr_private_segment_size 0
		.amdhsa_wavefront_size32 1
		.amdhsa_uses_dynamic_stack 0
		.amdhsa_system_sgpr_private_segment_wavefront_offset 0
		.amdhsa_system_sgpr_workgroup_id_x 1
		.amdhsa_system_sgpr_workgroup_id_y 0
		.amdhsa_system_sgpr_workgroup_id_z 0
		.amdhsa_system_sgpr_workgroup_info 0
		.amdhsa_system_vgpr_workitem_id 0
		.amdhsa_next_free_vgpr 29
		.amdhsa_next_free_sgpr 36
		.amdhsa_reserve_vcc 1
		.amdhsa_reserve_flat_scratch 0
		.amdhsa_float_round_mode_32 0
		.amdhsa_float_round_mode_16_64 0
		.amdhsa_float_denorm_mode_32 3
		.amdhsa_float_denorm_mode_16_64 3
		.amdhsa_dx10_clamp 1
		.amdhsa_ieee_mode 1
		.amdhsa_fp16_overflow 0
		.amdhsa_workgroup_processor_mode 1
		.amdhsa_memory_ordered 1
		.amdhsa_forward_progress 1
		.amdhsa_shared_vgpr_count 0
		.amdhsa_exception_fp_ieee_invalid_op 0
		.amdhsa_exception_fp_denorm_src 0
		.amdhsa_exception_fp_ieee_div_zero 0
		.amdhsa_exception_fp_ieee_overflow 0
		.amdhsa_exception_fp_ieee_underflow 0
		.amdhsa_exception_fp_ieee_inexact 0
		.amdhsa_exception_int_div_zero 0
	.end_amdhsa_kernel
	.section	.text._ZN9rocsparseL22bsrxmvn_general_kernelILj1024ELj32E21rocsparse_complex_numIfEllS2_S2_S2_EEv20rocsparse_direction_NS_24const_host_device_scalarIT1_EET3_PKS7_PKT2_SC_S9_PKT4_S7_PKT5_S6_PT6_21rocsparse_index_base_b,"axG",@progbits,_ZN9rocsparseL22bsrxmvn_general_kernelILj1024ELj32E21rocsparse_complex_numIfEllS2_S2_S2_EEv20rocsparse_direction_NS_24const_host_device_scalarIT1_EET3_PKS7_PKT2_SC_S9_PKT4_S7_PKT5_S6_PT6_21rocsparse_index_base_b,comdat
.Lfunc_end32:
	.size	_ZN9rocsparseL22bsrxmvn_general_kernelILj1024ELj32E21rocsparse_complex_numIfEllS2_S2_S2_EEv20rocsparse_direction_NS_24const_host_device_scalarIT1_EET3_PKS7_PKT2_SC_S9_PKT4_S7_PKT5_S6_PT6_21rocsparse_index_base_b, .Lfunc_end32-_ZN9rocsparseL22bsrxmvn_general_kernelILj1024ELj32E21rocsparse_complex_numIfEllS2_S2_S2_EEv20rocsparse_direction_NS_24const_host_device_scalarIT1_EET3_PKS7_PKT2_SC_S9_PKT4_S7_PKT5_S6_PT6_21rocsparse_index_base_b
                                        ; -- End function
	.set _ZN9rocsparseL22bsrxmvn_general_kernelILj1024ELj32E21rocsparse_complex_numIfEllS2_S2_S2_EEv20rocsparse_direction_NS_24const_host_device_scalarIT1_EET3_PKS7_PKT2_SC_S9_PKT4_S7_PKT5_S6_PT6_21rocsparse_index_base_b.num_vgpr, 29
	.set _ZN9rocsparseL22bsrxmvn_general_kernelILj1024ELj32E21rocsparse_complex_numIfEllS2_S2_S2_EEv20rocsparse_direction_NS_24const_host_device_scalarIT1_EET3_PKS7_PKT2_SC_S9_PKT4_S7_PKT5_S6_PT6_21rocsparse_index_base_b.num_agpr, 0
	.set _ZN9rocsparseL22bsrxmvn_general_kernelILj1024ELj32E21rocsparse_complex_numIfEllS2_S2_S2_EEv20rocsparse_direction_NS_24const_host_device_scalarIT1_EET3_PKS7_PKT2_SC_S9_PKT4_S7_PKT5_S6_PT6_21rocsparse_index_base_b.numbered_sgpr, 36
	.set _ZN9rocsparseL22bsrxmvn_general_kernelILj1024ELj32E21rocsparse_complex_numIfEllS2_S2_S2_EEv20rocsparse_direction_NS_24const_host_device_scalarIT1_EET3_PKS7_PKT2_SC_S9_PKT4_S7_PKT5_S6_PT6_21rocsparse_index_base_b.num_named_barrier, 0
	.set _ZN9rocsparseL22bsrxmvn_general_kernelILj1024ELj32E21rocsparse_complex_numIfEllS2_S2_S2_EEv20rocsparse_direction_NS_24const_host_device_scalarIT1_EET3_PKS7_PKT2_SC_S9_PKT4_S7_PKT5_S6_PT6_21rocsparse_index_base_b.private_seg_size, 0
	.set _ZN9rocsparseL22bsrxmvn_general_kernelILj1024ELj32E21rocsparse_complex_numIfEllS2_S2_S2_EEv20rocsparse_direction_NS_24const_host_device_scalarIT1_EET3_PKS7_PKT2_SC_S9_PKT4_S7_PKT5_S6_PT6_21rocsparse_index_base_b.uses_vcc, 1
	.set _ZN9rocsparseL22bsrxmvn_general_kernelILj1024ELj32E21rocsparse_complex_numIfEllS2_S2_S2_EEv20rocsparse_direction_NS_24const_host_device_scalarIT1_EET3_PKS7_PKT2_SC_S9_PKT4_S7_PKT5_S6_PT6_21rocsparse_index_base_b.uses_flat_scratch, 0
	.set _ZN9rocsparseL22bsrxmvn_general_kernelILj1024ELj32E21rocsparse_complex_numIfEllS2_S2_S2_EEv20rocsparse_direction_NS_24const_host_device_scalarIT1_EET3_PKS7_PKT2_SC_S9_PKT4_S7_PKT5_S6_PT6_21rocsparse_index_base_b.has_dyn_sized_stack, 0
	.set _ZN9rocsparseL22bsrxmvn_general_kernelILj1024ELj32E21rocsparse_complex_numIfEllS2_S2_S2_EEv20rocsparse_direction_NS_24const_host_device_scalarIT1_EET3_PKS7_PKT2_SC_S9_PKT4_S7_PKT5_S6_PT6_21rocsparse_index_base_b.has_recursion, 0
	.set _ZN9rocsparseL22bsrxmvn_general_kernelILj1024ELj32E21rocsparse_complex_numIfEllS2_S2_S2_EEv20rocsparse_direction_NS_24const_host_device_scalarIT1_EET3_PKS7_PKT2_SC_S9_PKT4_S7_PKT5_S6_PT6_21rocsparse_index_base_b.has_indirect_call, 0
	.section	.AMDGPU.csdata,"",@progbits
; Kernel info:
; codeLenInByte = 1484
; TotalNumSgprs: 38
; NumVgprs: 29
; ScratchSize: 0
; MemoryBound: 0
; FloatMode: 240
; IeeeMode: 1
; LDSByteSize: 0 bytes/workgroup (compile time only)
; SGPRBlocks: 0
; VGPRBlocks: 3
; NumSGPRsForWavesPerEU: 38
; NumVGPRsForWavesPerEU: 29
; Occupancy: 16
; WaveLimiterHint : 0
; COMPUTE_PGM_RSRC2:SCRATCH_EN: 0
; COMPUTE_PGM_RSRC2:USER_SGPR: 6
; COMPUTE_PGM_RSRC2:TRAP_HANDLER: 0
; COMPUTE_PGM_RSRC2:TGID_X_EN: 1
; COMPUTE_PGM_RSRC2:TGID_Y_EN: 0
; COMPUTE_PGM_RSRC2:TGID_Z_EN: 0
; COMPUTE_PGM_RSRC2:TIDIG_COMP_CNT: 0
	.section	.text._ZN9rocsparseL22bsrxmvn_general_kernelILj64ELj8E21rocsparse_complex_numIdEllS2_S2_S2_EEv20rocsparse_direction_NS_24const_host_device_scalarIT1_EET3_PKS7_PKT2_SC_S9_PKT4_S7_PKT5_S6_PT6_21rocsparse_index_base_b,"axG",@progbits,_ZN9rocsparseL22bsrxmvn_general_kernelILj64ELj8E21rocsparse_complex_numIdEllS2_S2_S2_EEv20rocsparse_direction_NS_24const_host_device_scalarIT1_EET3_PKS7_PKT2_SC_S9_PKT4_S7_PKT5_S6_PT6_21rocsparse_index_base_b,comdat
	.globl	_ZN9rocsparseL22bsrxmvn_general_kernelILj64ELj8E21rocsparse_complex_numIdEllS2_S2_S2_EEv20rocsparse_direction_NS_24const_host_device_scalarIT1_EET3_PKS7_PKT2_SC_S9_PKT4_S7_PKT5_S6_PT6_21rocsparse_index_base_b ; -- Begin function _ZN9rocsparseL22bsrxmvn_general_kernelILj64ELj8E21rocsparse_complex_numIdEllS2_S2_S2_EEv20rocsparse_direction_NS_24const_host_device_scalarIT1_EET3_PKS7_PKT2_SC_S9_PKT4_S7_PKT5_S6_PT6_21rocsparse_index_base_b
	.p2align	8
	.type	_ZN9rocsparseL22bsrxmvn_general_kernelILj64ELj8E21rocsparse_complex_numIdEllS2_S2_S2_EEv20rocsparse_direction_NS_24const_host_device_scalarIT1_EET3_PKS7_PKT2_SC_S9_PKT4_S7_PKT5_S6_PT6_21rocsparse_index_base_b,@function
_ZN9rocsparseL22bsrxmvn_general_kernelILj64ELj8E21rocsparse_complex_numIdEllS2_S2_S2_EEv20rocsparse_direction_NS_24const_host_device_scalarIT1_EET3_PKS7_PKT2_SC_S9_PKT4_S7_PKT5_S6_PT6_21rocsparse_index_base_b: ; @_ZN9rocsparseL22bsrxmvn_general_kernelILj64ELj8E21rocsparse_complex_numIdEllS2_S2_S2_EEv20rocsparse_direction_NS_24const_host_device_scalarIT1_EET3_PKS7_PKT2_SC_S9_PKT4_S7_PKT5_S6_PT6_21rocsparse_index_base_b
; %bb.0:
	s_clause 0x1
	s_load_dwordx2 s[16:17], s[4:5], 0x70
	s_load_dwordx2 s[0:1], s[4:5], 0x8
	s_add_u32 s7, s4, 8
	s_addc_u32 s8, s5, 0
	s_add_u32 s9, s4, 0x58
	s_addc_u32 s10, s5, 0
	s_load_dwordx2 s[2:3], s[4:5], 0x58
	s_waitcnt lgkmcnt(0)
	s_bitcmp1_b32 s17, 0
	s_cselect_b32 s0, s7, s0
	s_cselect_b32 s1, s8, s1
	v_mov_b32_e32 v1, s0
	v_mov_b32_e32 v2, s1
	s_cselect_b32 s0, s9, s2
	s_cselect_b32 s1, s10, s3
	v_mov_b32_e32 v5, s0
	v_mov_b32_e32 v6, s1
	flat_load_dwordx4 v[1:4], v[1:2]
	flat_load_dwordx4 v[5:8], v[5:6]
	s_waitcnt vmcnt(1) lgkmcnt(1)
	v_cmp_eq_f64_e32 vcc_lo, 0, v[1:2]
	v_cmp_eq_f64_e64 s0, 0, v[3:4]
	s_and_b32 s2, vcc_lo, s0
	s_mov_b32 s0, -1
	s_and_saveexec_b32 s1, s2
	s_cbranch_execz .LBB33_2
; %bb.1:
	s_waitcnt vmcnt(0) lgkmcnt(0)
	v_cmp_neq_f64_e32 vcc_lo, 1.0, v[5:6]
	v_cmp_neq_f64_e64 s0, 0, v[7:8]
	s_or_b32 s0, vcc_lo, s0
	s_orn2_b32 s0, s0, exec_lo
.LBB33_2:
	s_or_b32 exec_lo, exec_lo, s1
	s_and_saveexec_b32 s1, s0
	s_cbranch_execz .LBB33_24
; %bb.3:
	s_load_dwordx2 s[0:1], s[4:5], 0x20
	s_mov_b32 s7, 0
	s_waitcnt lgkmcnt(0)
	s_cmp_eq_u64 s[0:1], 0
	s_cbranch_scc1 .LBB33_5
; %bb.4:
	s_lshl_b64 s[2:3], s[6:7], 3
	s_add_u32 s0, s0, s2
	s_addc_u32 s1, s1, s3
	s_load_dwordx2 s[0:1], s[0:1], 0x0
	s_waitcnt lgkmcnt(0)
	s_sub_u32 s6, s0, s16
	s_subb_u32 s7, s1, 0
.LBB33_5:
	s_load_dwordx2 s[18:19], s[4:5], 0x48
	v_lshrrev_b32_e32 v13, 3, v0
	v_mov_b32_e32 v14, 0
	s_waitcnt lgkmcnt(0)
	v_cmp_gt_i64_e32 vcc_lo, s[18:19], v[13:14]
	s_and_b32 exec_lo, exec_lo, vcc_lo
	s_cbranch_execz .LBB33_24
; %bb.6:
	s_load_dwordx8 s[8:15], s[4:5], 0x28
	s_lshl_b64 s[24:25], s[6:7], 3
	v_and_b32_e32 v15, 7, v0
	v_mbcnt_lo_u32_b32 v0, -1, 0
	s_load_dword s29, s[4:5], 0x0
	s_mul_i32 s30, s6, s19
	s_mul_hi_u32 s31, s6, s18
	s_mul_i32 s28, s6, s18
	v_xor_b32_e32 v9, 4, v0
	s_mul_i32 s33, s7, s18
	v_xor_b32_e32 v10, 2, v0
	v_xor_b32_e32 v11, 1, v0
	s_waitcnt vmcnt(0)
	v_cmp_eq_f64_e32 vcc_lo, 0, v[5:6]
	v_cmp_eq_f64_e64 s2, 0, v[7:8]
	v_lshlrev_b32_e32 v12, 4, v15
	v_mov_b32_e32 v16, v14
	s_mul_i32 s34, s18, s19
	s_mul_hi_u32 s35, s18, s18
	v_cmp_eq_u32_e64 s1, 7, v15
	s_mov_b32 s17, 0
	s_waitcnt lgkmcnt(0)
	s_add_u32 s26, s8, s24
	s_addc_u32 s27, s9, s25
	v_cmp_gt_u64_e64 s0, s[18:19], v[15:16]
	s_load_dwordx2 s[20:21], s[26:27], 0x0
	s_clause 0x1
	s_load_dwordx2 s[8:9], s[4:5], 0x68
	s_load_dwordx2 s[22:23], s[4:5], 0x50
	s_waitcnt lgkmcnt(0)
	s_sub_u32 s4, s20, s16
	s_subb_u32 s5, s21, 0
	s_add_u32 s3, s26, 8
	s_addc_u32 s6, s27, 0
	s_add_u32 s24, s10, s24
	s_addc_u32 s7, s11, s25
	s_cmp_eq_u64 s[10:11], 0
	s_mul_i32 s27, s18, s18
	s_cselect_b32 s7, s6, s7
	s_cselect_b32 s6, s3, s24
	v_cmp_gt_i32_e64 s3, 32, v9
	s_load_dwordx2 s[10:11], s[6:7], 0x0
	s_mul_i32 s6, s18, s5
	v_cndmask_b32_e64 v17, v0, v9, s3
	v_cmp_gt_i32_e64 s3, 32, v10
	v_cndmask_b32_e64 v18, v0, v10, s3
	v_cmp_gt_i32_e64 s3, 32, v11
	v_mad_u64_u32 v[9:10], null, s18, s4, v[13:14]
	v_lshlrev_b32_e32 v29, 2, v18
	v_cndmask_b32_e64 v11, v0, v11, s3
	s_mul_i32 s3, s19, s4
	v_lshlrev_b32_e32 v0, 2, v17
	v_add3_u32 v10, s6, s3, v10
	v_lshlrev_b32_e32 v30, 2, v11
	v_add_co_u32 v11, s3, s22, v12
	v_add_co_ci_u32_e64 v12, null, s23, 0, s3
	s_waitcnt lgkmcnt(0)
	s_sub_u32 s6, s10, s16
	s_subb_u32 s7, s11, 0
	v_mul_lo_u32 v21, s19, v9
	v_mad_u64_u32 v[17:18], null, s18, v9, 0
	v_mul_lo_u32 v9, s18, v10
	s_cmp_lg_u32 s29, 0
	v_add_co_u32 v19, s3, v11, 8
	v_add_co_ci_u32_e64 v20, null, 0, v12, s3
	s_cselect_b32 s3, -1, 0
	s_add_i32 s22, s31, s30
	s_and_b32 s23, vcc_lo, s2
	s_add_i32 s29, s22, s33
	v_cmp_lt_i64_e64 s22, s[20:21], s[10:11]
	s_lshl_b64 s[10:11], s[28:29], 4
	v_add3_u32 v18, v18, v9, v21
	s_add_u32 s24, s8, s10
	s_addc_u32 s25, s9, s11
	s_add_i32 s2, s35, s34
	s_lshl_b64 s[8:9], s[18:19], 4
	s_lshl_b64 s[10:11], s[18:19], 3
	s_add_i32 s26, s2, s34
	s_branch .LBB33_8
.LBB33_7:                               ;   in Loop: Header=BB33_8 Depth=1
	s_or_b32 exec_lo, exec_lo, s2
	v_add_co_u32 v13, vcc_lo, v13, 8
	v_add_co_ci_u32_e64 v14, null, 0, v14, vcc_lo
	v_add_co_u32 v17, s2, v17, s10
	v_add_co_ci_u32_e64 v18, null, s11, v18, s2
	v_cmp_le_i64_e32 vcc_lo, s[18:19], v[13:14]
	s_or_b32 s17, vcc_lo, s17
	s_andn2_b32 exec_lo, exec_lo, s17
	s_cbranch_execz .LBB33_24
.LBB33_8:                               ; =>This Loop Header: Depth=1
                                        ;     Child Loop BB33_12 Depth 2
                                        ;       Child Loop BB33_15 Depth 3
	v_mov_b32_e32 v9, 0
	v_mov_b32_e32 v11, 0
	;; [unrolled: 1-line block ×4, first 2 shown]
	s_andn2_b32 vcc_lo, exec_lo, s22
	s_cbranch_vccnz .LBB33_19
; %bb.9:                                ;   in Loop: Header=BB33_8 Depth=1
	v_mov_b32_e32 v9, 0
	v_mov_b32_e32 v11, 0
	s_waitcnt lgkmcnt(2)
	v_mov_b32_e32 v22, v18
	v_mov_b32_e32 v10, 0
	v_mov_b32_e32 v12, 0
	v_mov_b32_e32 v21, v17
	s_mov_b64 s[20:21], s[4:5]
	s_branch .LBB33_12
.LBB33_10:                              ;   in Loop: Header=BB33_12 Depth=2
	s_or_b32 exec_lo, exec_lo, s30
.LBB33_11:                              ;   in Loop: Header=BB33_12 Depth=2
	s_or_b32 exec_lo, exec_lo, s28
	s_add_u32 s20, s20, 1
	s_addc_u32 s21, s21, 0
	v_add_co_u32 v21, vcc_lo, v21, s27
	v_cmp_ge_i64_e64 s2, s[20:21], s[6:7]
	v_add_co_ci_u32_e64 v22, null, s26, v22, vcc_lo
	s_and_b32 vcc_lo, exec_lo, s2
	s_cbranch_vccnz .LBB33_19
.LBB33_12:                              ;   Parent Loop BB33_8 Depth=1
                                        ; =>  This Loop Header: Depth=2
                                        ;       Child Loop BB33_15 Depth 3
	s_and_saveexec_b32 s28, s0
	s_cbranch_execz .LBB33_11
; %bb.13:                               ;   in Loop: Header=BB33_12 Depth=2
	s_lshl_b64 s[30:31], s[20:21], 3
	s_mul_i32 s29, s20, s19
	s_add_u32 s30, s12, s30
	s_addc_u32 s31, s13, s31
	v_mov_b32_e32 v26, v16
	s_load_dwordx2 s[30:31], s[30:31], 0x0
	v_mov_b32_e32 v25, v15
	s_mul_i32 s33, s21, s18
	s_waitcnt lgkmcnt(0)
	s_sub_u32 s2, s30, s16
	s_subb_u32 s31, s31, 0
	v_mad_u64_u32 v[23:24], null, s8, s2, v[19:20]
	s_mul_i32 s2, s9, s2
	s_mul_i32 s31, s8, s31
	s_mul_hi_u32 s30, s20, s18
	s_add_i32 s29, s30, s29
	s_mov_b32 s30, 0
	v_add3_u32 v24, s31, s2, v24
	s_add_i32 s29, s29, s33
	s_mul_i32 s31, s20, s18
	s_branch .LBB33_15
.LBB33_14:                              ;   in Loop: Header=BB33_15 Depth=3
	v_lshlrev_b64 v[27:28], 4, v[27:28]
	v_add_co_u32 v27, vcc_lo, s14, v27
	v_add_co_ci_u32_e64 v28, null, s15, v28, vcc_lo
	v_add_co_u32 v25, vcc_lo, v25, 8
	global_load_dwordx4 v[31:34], v[23:24], off offset:-8
	global_load_dwordx4 v[35:38], v[27:28], off
	v_add_co_ci_u32_e64 v26, null, 0, v26, vcc_lo
	v_add_co_u32 v23, s2, 0x80, v23
	v_add_co_ci_u32_e64 v24, null, 0, v24, s2
	v_cmp_le_i64_e32 vcc_lo, s[18:19], v[25:26]
	s_or_b32 s30, vcc_lo, s30
	s_waitcnt vmcnt(0)
	v_fma_f64 v[11:12], v[35:36], v[31:32], v[11:12]
	v_fma_f64 v[9:10], v[37:38], v[31:32], v[9:10]
	v_fma_f64 v[11:12], -v[37:38], v[33:34], v[11:12]
	v_fma_f64 v[9:10], v[35:36], v[33:34], v[9:10]
	s_andn2_b32 exec_lo, exec_lo, s30
	s_cbranch_execz .LBB33_10
.LBB33_15:                              ;   Parent Loop BB33_8 Depth=1
                                        ;     Parent Loop BB33_12 Depth=2
                                        ; =>    This Inner Loop Header: Depth=3
	s_and_b32 vcc_lo, exec_lo, s3
	s_cbranch_vccz .LBB33_17
; %bb.16:                               ;   in Loop: Header=BB33_15 Depth=3
	v_add_co_u32 v27, vcc_lo, v25, s31
	v_add_co_ci_u32_e64 v28, null, s29, v26, vcc_lo
	v_mul_lo_u32 v31, v27, s19
	v_mul_lo_u32 v32, v28, s18
	v_mad_u64_u32 v[27:28], null, v27, s18, v[13:14]
	v_add3_u32 v28, v32, v28, v31
	s_cbranch_execnz .LBB33_14
	s_branch .LBB33_18
.LBB33_17:                              ;   in Loop: Header=BB33_15 Depth=3
                                        ; implicit-def: $vgpr27_vgpr28
.LBB33_18:                              ;   in Loop: Header=BB33_15 Depth=3
	v_add_co_u32 v27, vcc_lo, v21, v25
	v_add_co_ci_u32_e64 v28, null, v22, v26, vcc_lo
	s_branch .LBB33_14
.LBB33_19:                              ;   in Loop: Header=BB33_8 Depth=1
	s_waitcnt lgkmcnt(3)
	ds_bpermute_b32 v21, v0, v11
	s_waitcnt lgkmcnt(3)
	ds_bpermute_b32 v22, v0, v12
	;; [unrolled: 2-line block ×4, first 2 shown]
	s_waitcnt lgkmcnt(2)
	v_add_f64 v[11:12], v[11:12], v[21:22]
	s_waitcnt lgkmcnt(0)
	v_add_f64 v[21:22], v[9:10], v[23:24]
	ds_bpermute_b32 v9, v29, v11
	ds_bpermute_b32 v10, v29, v12
	;; [unrolled: 1-line block ×4, first 2 shown]
	s_waitcnt lgkmcnt(2)
	v_add_f64 v[9:10], v[11:12], v[9:10]
	s_waitcnt lgkmcnt(0)
	v_add_f64 v[11:12], v[21:22], v[23:24]
	ds_bpermute_b32 v21, v30, v9
	ds_bpermute_b32 v22, v30, v10
	;; [unrolled: 1-line block ×4, first 2 shown]
	s_and_saveexec_b32 s2, s1
	s_cbranch_execz .LBB33_7
; %bb.20:                               ;   in Loop: Header=BB33_8 Depth=1
	s_waitcnt lgkmcnt(0)
	v_add_f64 v[11:12], v[11:12], v[23:24]
	v_add_f64 v[21:22], v[9:10], v[21:22]
	v_mul_f64 v[9:10], v[11:12], -v[3:4]
	v_mul_f64 v[11:12], v[1:2], v[11:12]
	v_fma_f64 v[9:10], v[1:2], v[21:22], v[9:10]
	v_fma_f64 v[11:12], v[3:4], v[21:22], v[11:12]
	v_lshlrev_b64 v[21:22], 4, v[13:14]
	s_and_saveexec_b32 s20, s23
	s_xor_b32 s20, exec_lo, s20
	s_cbranch_execz .LBB33_22
; %bb.21:                               ;   in Loop: Header=BB33_8 Depth=1
	v_add_co_u32 v21, vcc_lo, s24, v21
	v_add_co_ci_u32_e64 v22, null, s25, v22, vcc_lo
	global_store_dwordx4 v[21:22], v[9:12], off
                                        ; implicit-def: $vgpr21_vgpr22
                                        ; implicit-def: $vgpr9_vgpr10
.LBB33_22:                              ;   in Loop: Header=BB33_8 Depth=1
	s_andn2_saveexec_b32 s20, s20
	s_cbranch_execz .LBB33_7
; %bb.23:                               ;   in Loop: Header=BB33_8 Depth=1
	v_add_co_u32 v25, vcc_lo, s24, v21
	v_add_co_ci_u32_e64 v26, null, s25, v22, vcc_lo
	global_load_dwordx4 v[21:24], v[25:26], off
	s_waitcnt vmcnt(0)
	v_fma_f64 v[9:10], v[5:6], v[21:22], v[9:10]
	v_fma_f64 v[11:12], v[7:8], v[21:22], v[11:12]
	v_fma_f64 v[9:10], -v[7:8], v[23:24], v[9:10]
	v_fma_f64 v[11:12], v[5:6], v[23:24], v[11:12]
	global_store_dwordx4 v[25:26], v[9:12], off
	s_branch .LBB33_7
.LBB33_24:
	s_endpgm
	.section	.rodata,"a",@progbits
	.p2align	6, 0x0
	.amdhsa_kernel _ZN9rocsparseL22bsrxmvn_general_kernelILj64ELj8E21rocsparse_complex_numIdEllS2_S2_S2_EEv20rocsparse_direction_NS_24const_host_device_scalarIT1_EET3_PKS7_PKT2_SC_S9_PKT4_S7_PKT5_S6_PT6_21rocsparse_index_base_b
		.amdhsa_group_segment_fixed_size 0
		.amdhsa_private_segment_fixed_size 0
		.amdhsa_kernarg_size 120
		.amdhsa_user_sgpr_count 6
		.amdhsa_user_sgpr_private_segment_buffer 1
		.amdhsa_user_sgpr_dispatch_ptr 0
		.amdhsa_user_sgpr_queue_ptr 0
		.amdhsa_user_sgpr_kernarg_segment_ptr 1
		.amdhsa_user_sgpr_dispatch_id 0
		.amdhsa_user_sgpr_flat_scratch_init 0
		.amdhsa_user_sgpr_private_segment_size 0
		.amdhsa_wavefront_size32 1
		.amdhsa_uses_dynamic_stack 0
		.amdhsa_system_sgpr_private_segment_wavefront_offset 0
		.amdhsa_system_sgpr_workgroup_id_x 1
		.amdhsa_system_sgpr_workgroup_id_y 0
		.amdhsa_system_sgpr_workgroup_id_z 0
		.amdhsa_system_sgpr_workgroup_info 0
		.amdhsa_system_vgpr_workitem_id 0
		.amdhsa_next_free_vgpr 39
		.amdhsa_next_free_sgpr 36
		.amdhsa_reserve_vcc 1
		.amdhsa_reserve_flat_scratch 0
		.amdhsa_float_round_mode_32 0
		.amdhsa_float_round_mode_16_64 0
		.amdhsa_float_denorm_mode_32 3
		.amdhsa_float_denorm_mode_16_64 3
		.amdhsa_dx10_clamp 1
		.amdhsa_ieee_mode 1
		.amdhsa_fp16_overflow 0
		.amdhsa_workgroup_processor_mode 1
		.amdhsa_memory_ordered 1
		.amdhsa_forward_progress 1
		.amdhsa_shared_vgpr_count 0
		.amdhsa_exception_fp_ieee_invalid_op 0
		.amdhsa_exception_fp_denorm_src 0
		.amdhsa_exception_fp_ieee_div_zero 0
		.amdhsa_exception_fp_ieee_overflow 0
		.amdhsa_exception_fp_ieee_underflow 0
		.amdhsa_exception_fp_ieee_inexact 0
		.amdhsa_exception_int_div_zero 0
	.end_amdhsa_kernel
	.section	.text._ZN9rocsparseL22bsrxmvn_general_kernelILj64ELj8E21rocsparse_complex_numIdEllS2_S2_S2_EEv20rocsparse_direction_NS_24const_host_device_scalarIT1_EET3_PKS7_PKT2_SC_S9_PKT4_S7_PKT5_S6_PT6_21rocsparse_index_base_b,"axG",@progbits,_ZN9rocsparseL22bsrxmvn_general_kernelILj64ELj8E21rocsparse_complex_numIdEllS2_S2_S2_EEv20rocsparse_direction_NS_24const_host_device_scalarIT1_EET3_PKS7_PKT2_SC_S9_PKT4_S7_PKT5_S6_PT6_21rocsparse_index_base_b,comdat
.Lfunc_end33:
	.size	_ZN9rocsparseL22bsrxmvn_general_kernelILj64ELj8E21rocsparse_complex_numIdEllS2_S2_S2_EEv20rocsparse_direction_NS_24const_host_device_scalarIT1_EET3_PKS7_PKT2_SC_S9_PKT4_S7_PKT5_S6_PT6_21rocsparse_index_base_b, .Lfunc_end33-_ZN9rocsparseL22bsrxmvn_general_kernelILj64ELj8E21rocsparse_complex_numIdEllS2_S2_S2_EEv20rocsparse_direction_NS_24const_host_device_scalarIT1_EET3_PKS7_PKT2_SC_S9_PKT4_S7_PKT5_S6_PT6_21rocsparse_index_base_b
                                        ; -- End function
	.set _ZN9rocsparseL22bsrxmvn_general_kernelILj64ELj8E21rocsparse_complex_numIdEllS2_S2_S2_EEv20rocsparse_direction_NS_24const_host_device_scalarIT1_EET3_PKS7_PKT2_SC_S9_PKT4_S7_PKT5_S6_PT6_21rocsparse_index_base_b.num_vgpr, 39
	.set _ZN9rocsparseL22bsrxmvn_general_kernelILj64ELj8E21rocsparse_complex_numIdEllS2_S2_S2_EEv20rocsparse_direction_NS_24const_host_device_scalarIT1_EET3_PKS7_PKT2_SC_S9_PKT4_S7_PKT5_S6_PT6_21rocsparse_index_base_b.num_agpr, 0
	.set _ZN9rocsparseL22bsrxmvn_general_kernelILj64ELj8E21rocsparse_complex_numIdEllS2_S2_S2_EEv20rocsparse_direction_NS_24const_host_device_scalarIT1_EET3_PKS7_PKT2_SC_S9_PKT4_S7_PKT5_S6_PT6_21rocsparse_index_base_b.numbered_sgpr, 36
	.set _ZN9rocsparseL22bsrxmvn_general_kernelILj64ELj8E21rocsparse_complex_numIdEllS2_S2_S2_EEv20rocsparse_direction_NS_24const_host_device_scalarIT1_EET3_PKS7_PKT2_SC_S9_PKT4_S7_PKT5_S6_PT6_21rocsparse_index_base_b.num_named_barrier, 0
	.set _ZN9rocsparseL22bsrxmvn_general_kernelILj64ELj8E21rocsparse_complex_numIdEllS2_S2_S2_EEv20rocsparse_direction_NS_24const_host_device_scalarIT1_EET3_PKS7_PKT2_SC_S9_PKT4_S7_PKT5_S6_PT6_21rocsparse_index_base_b.private_seg_size, 0
	.set _ZN9rocsparseL22bsrxmvn_general_kernelILj64ELj8E21rocsparse_complex_numIdEllS2_S2_S2_EEv20rocsparse_direction_NS_24const_host_device_scalarIT1_EET3_PKS7_PKT2_SC_S9_PKT4_S7_PKT5_S6_PT6_21rocsparse_index_base_b.uses_vcc, 1
	.set _ZN9rocsparseL22bsrxmvn_general_kernelILj64ELj8E21rocsparse_complex_numIdEllS2_S2_S2_EEv20rocsparse_direction_NS_24const_host_device_scalarIT1_EET3_PKS7_PKT2_SC_S9_PKT4_S7_PKT5_S6_PT6_21rocsparse_index_base_b.uses_flat_scratch, 0
	.set _ZN9rocsparseL22bsrxmvn_general_kernelILj64ELj8E21rocsparse_complex_numIdEllS2_S2_S2_EEv20rocsparse_direction_NS_24const_host_device_scalarIT1_EET3_PKS7_PKT2_SC_S9_PKT4_S7_PKT5_S6_PT6_21rocsparse_index_base_b.has_dyn_sized_stack, 0
	.set _ZN9rocsparseL22bsrxmvn_general_kernelILj64ELj8E21rocsparse_complex_numIdEllS2_S2_S2_EEv20rocsparse_direction_NS_24const_host_device_scalarIT1_EET3_PKS7_PKT2_SC_S9_PKT4_S7_PKT5_S6_PT6_21rocsparse_index_base_b.has_recursion, 0
	.set _ZN9rocsparseL22bsrxmvn_general_kernelILj64ELj8E21rocsparse_complex_numIdEllS2_S2_S2_EEv20rocsparse_direction_NS_24const_host_device_scalarIT1_EET3_PKS7_PKT2_SC_S9_PKT4_S7_PKT5_S6_PT6_21rocsparse_index_base_b.has_indirect_call, 0
	.section	.AMDGPU.csdata,"",@progbits
; Kernel info:
; codeLenInByte = 1508
; TotalNumSgprs: 38
; NumVgprs: 39
; ScratchSize: 0
; MemoryBound: 0
; FloatMode: 240
; IeeeMode: 1
; LDSByteSize: 0 bytes/workgroup (compile time only)
; SGPRBlocks: 0
; VGPRBlocks: 4
; NumSGPRsForWavesPerEU: 38
; NumVGPRsForWavesPerEU: 39
; Occupancy: 16
; WaveLimiterHint : 0
; COMPUTE_PGM_RSRC2:SCRATCH_EN: 0
; COMPUTE_PGM_RSRC2:USER_SGPR: 6
; COMPUTE_PGM_RSRC2:TRAP_HANDLER: 0
; COMPUTE_PGM_RSRC2:TGID_X_EN: 1
; COMPUTE_PGM_RSRC2:TGID_Y_EN: 0
; COMPUTE_PGM_RSRC2:TGID_Z_EN: 0
; COMPUTE_PGM_RSRC2:TIDIG_COMP_CNT: 0
	.section	.text._ZN9rocsparseL22bsrxmvn_general_kernelILj256ELj16E21rocsparse_complex_numIdEllS2_S2_S2_EEv20rocsparse_direction_NS_24const_host_device_scalarIT1_EET3_PKS7_PKT2_SC_S9_PKT4_S7_PKT5_S6_PT6_21rocsparse_index_base_b,"axG",@progbits,_ZN9rocsparseL22bsrxmvn_general_kernelILj256ELj16E21rocsparse_complex_numIdEllS2_S2_S2_EEv20rocsparse_direction_NS_24const_host_device_scalarIT1_EET3_PKS7_PKT2_SC_S9_PKT4_S7_PKT5_S6_PT6_21rocsparse_index_base_b,comdat
	.globl	_ZN9rocsparseL22bsrxmvn_general_kernelILj256ELj16E21rocsparse_complex_numIdEllS2_S2_S2_EEv20rocsparse_direction_NS_24const_host_device_scalarIT1_EET3_PKS7_PKT2_SC_S9_PKT4_S7_PKT5_S6_PT6_21rocsparse_index_base_b ; -- Begin function _ZN9rocsparseL22bsrxmvn_general_kernelILj256ELj16E21rocsparse_complex_numIdEllS2_S2_S2_EEv20rocsparse_direction_NS_24const_host_device_scalarIT1_EET3_PKS7_PKT2_SC_S9_PKT4_S7_PKT5_S6_PT6_21rocsparse_index_base_b
	.p2align	8
	.type	_ZN9rocsparseL22bsrxmvn_general_kernelILj256ELj16E21rocsparse_complex_numIdEllS2_S2_S2_EEv20rocsparse_direction_NS_24const_host_device_scalarIT1_EET3_PKS7_PKT2_SC_S9_PKT4_S7_PKT5_S6_PT6_21rocsparse_index_base_b,@function
_ZN9rocsparseL22bsrxmvn_general_kernelILj256ELj16E21rocsparse_complex_numIdEllS2_S2_S2_EEv20rocsparse_direction_NS_24const_host_device_scalarIT1_EET3_PKS7_PKT2_SC_S9_PKT4_S7_PKT5_S6_PT6_21rocsparse_index_base_b: ; @_ZN9rocsparseL22bsrxmvn_general_kernelILj256ELj16E21rocsparse_complex_numIdEllS2_S2_S2_EEv20rocsparse_direction_NS_24const_host_device_scalarIT1_EET3_PKS7_PKT2_SC_S9_PKT4_S7_PKT5_S6_PT6_21rocsparse_index_base_b
; %bb.0:
	s_clause 0x1
	s_load_dwordx2 s[16:17], s[4:5], 0x70
	s_load_dwordx2 s[0:1], s[4:5], 0x8
	s_add_u32 s7, s4, 8
	s_addc_u32 s8, s5, 0
	s_add_u32 s9, s4, 0x58
	s_addc_u32 s10, s5, 0
	s_load_dwordx2 s[2:3], s[4:5], 0x58
	s_waitcnt lgkmcnt(0)
	s_bitcmp1_b32 s17, 0
	s_cselect_b32 s0, s7, s0
	s_cselect_b32 s1, s8, s1
	v_mov_b32_e32 v1, s0
	v_mov_b32_e32 v2, s1
	s_cselect_b32 s0, s9, s2
	s_cselect_b32 s1, s10, s3
	v_mov_b32_e32 v5, s0
	v_mov_b32_e32 v6, s1
	flat_load_dwordx4 v[1:4], v[1:2]
	flat_load_dwordx4 v[5:8], v[5:6]
	s_waitcnt vmcnt(1) lgkmcnt(1)
	v_cmp_eq_f64_e32 vcc_lo, 0, v[1:2]
	v_cmp_eq_f64_e64 s0, 0, v[3:4]
	s_and_b32 s2, vcc_lo, s0
	s_mov_b32 s0, -1
	s_and_saveexec_b32 s1, s2
	s_cbranch_execz .LBB34_2
; %bb.1:
	s_waitcnt vmcnt(0) lgkmcnt(0)
	v_cmp_neq_f64_e32 vcc_lo, 1.0, v[5:6]
	v_cmp_neq_f64_e64 s0, 0, v[7:8]
	s_or_b32 s0, vcc_lo, s0
	s_orn2_b32 s0, s0, exec_lo
.LBB34_2:
	s_or_b32 exec_lo, exec_lo, s1
	s_and_saveexec_b32 s1, s0
	s_cbranch_execz .LBB34_24
; %bb.3:
	s_load_dwordx2 s[0:1], s[4:5], 0x20
	s_mov_b32 s7, 0
	s_waitcnt lgkmcnt(0)
	s_cmp_eq_u64 s[0:1], 0
	s_cbranch_scc1 .LBB34_5
; %bb.4:
	s_lshl_b64 s[2:3], s[6:7], 3
	s_add_u32 s0, s0, s2
	s_addc_u32 s1, s1, s3
	s_load_dwordx2 s[0:1], s[0:1], 0x0
	s_waitcnt lgkmcnt(0)
	s_sub_u32 s6, s0, s16
	s_subb_u32 s7, s1, 0
.LBB34_5:
	s_load_dwordx2 s[18:19], s[4:5], 0x48
	v_lshrrev_b32_e32 v13, 4, v0
	v_mov_b32_e32 v14, 0
	s_waitcnt lgkmcnt(0)
	v_cmp_gt_i64_e32 vcc_lo, s[18:19], v[13:14]
	s_and_b32 exec_lo, exec_lo, vcc_lo
	s_cbranch_execz .LBB34_24
; %bb.6:
	s_clause 0x2
	s_load_dwordx8 s[8:15], s[4:5], 0x28
	s_load_dwordx2 s[20:21], s[4:5], 0x68
	s_load_dwordx2 s[22:23], s[4:5], 0x50
	s_lshl_b64 s[24:25], s[6:7], 3
	v_and_b32_e32 v15, 15, v0
	v_mbcnt_lo_u32_b32 v0, -1, 0
	s_mul_i32 s30, s6, s19
	s_mul_hi_u32 s31, s6, s18
	s_mul_i32 s28, s6, s18
	s_mul_i32 s33, s7, s18
	v_xor_b32_e32 v9, 8, v0
	v_xor_b32_e32 v10, 4, v0
	;; [unrolled: 1-line block ×4, first 2 shown]
	s_waitcnt vmcnt(0)
	v_cmp_eq_f64_e32 vcc_lo, 0, v[5:6]
	v_cmp_gt_i32_e64 s3, 32, v9
	v_cmp_eq_f64_e64 s2, 0, v[7:8]
	v_lshlrev_b32_e32 v17, 4, v15
	v_mov_b32_e32 v16, v14
	s_mul_i32 s34, s18, s19
	s_waitcnt lgkmcnt(0)
	s_add_u32 s26, s8, s24
	s_addc_u32 s27, s9, s25
	s_load_dword s29, s[4:5], 0x0
	s_load_dwordx2 s[8:9], s[26:27], 0x0
	v_cndmask_b32_e64 v18, v0, v9, s3
	v_cmp_gt_i32_e64 s3, 32, v10
	s_mul_hi_u32 s35, s18, s18
	v_cmp_gt_u64_e64 s0, s[18:19], v[15:16]
	v_cmp_eq_u32_e64 s1, 15, v15
	s_mov_b32 s17, 0
	v_cndmask_b32_e64 v19, v0, v10, s3
	v_cmp_gt_i32_e64 s3, 32, v11
	v_lshlrev_b32_e32 v29, 2, v19
	v_cndmask_b32_e64 v11, v0, v11, s3
	v_cmp_gt_i32_e64 s3, 32, v12
	v_lshlrev_b32_e32 v30, 2, v11
	v_cndmask_b32_e64 v12, v0, v12, s3
	s_waitcnt lgkmcnt(0)
	s_sub_u32 s4, s8, s16
	s_subb_u32 s5, s9, 0
	s_add_u32 s6, s26, 8
	s_addc_u32 s7, s27, 0
	s_add_u32 s24, s10, s24
	s_addc_u32 s25, s11, s25
	s_cmp_eq_u64 s[10:11], 0
	v_mad_u64_u32 v[9:10], null, s18, s4, v[13:14]
	s_cselect_b32 s7, s7, s25
	s_cselect_b32 s6, s6, s24
	s_mul_i32 s3, s19, s4
	s_load_dwordx2 s[10:11], s[6:7], 0x0
	s_mul_i32 s6, s18, s5
	v_lshlrev_b32_e32 v31, 2, v12
	v_add3_u32 v10, s6, s3, v10
	v_add_co_u32 v11, s3, s22, v17
	v_add_co_ci_u32_e64 v12, null, s23, 0, s3
	v_lshlrev_b32_e32 v0, 2, v18
	v_mul_lo_u32 v21, s19, v9
	v_mad_u64_u32 v[17:18], null, s18, v9, 0
	v_mul_lo_u32 v9, s18, v10
	v_add_co_u32 v19, s3, v11, 8
	v_add_co_ci_u32_e64 v20, null, 0, v12, s3
	s_mul_i32 s25, s18, s18
	s_waitcnt lgkmcnt(0)
	s_sub_u32 s6, s10, s16
	s_subb_u32 s7, s11, 0
	s_cmp_lg_u32 s29, 0
	v_add3_u32 v18, v18, v9, v21
	s_cselect_b32 s3, -1, 0
	s_add_i32 s22, s31, s30
	s_and_b32 s23, vcc_lo, s2
	s_add_i32 s29, s22, s33
	v_cmp_lt_i64_e64 s22, s[8:9], s[10:11]
	s_lshl_b64 s[8:9], s[28:29], 4
	s_add_u32 s20, s20, s8
	s_addc_u32 s21, s21, s9
	s_add_i32 s2, s35, s34
	s_lshl_b64 s[8:9], s[18:19], 4
	s_add_i32 s24, s2, s34
	s_branch .LBB34_8
.LBB34_7:                               ;   in Loop: Header=BB34_8 Depth=1
	s_or_b32 exec_lo, exec_lo, s2
	v_add_co_u32 v13, vcc_lo, v13, 16
	v_add_co_ci_u32_e64 v14, null, 0, v14, vcc_lo
	v_add_co_u32 v17, s2, v17, s8
	v_add_co_ci_u32_e64 v18, null, s9, v18, s2
	v_cmp_le_i64_e32 vcc_lo, s[18:19], v[13:14]
	s_or_b32 s17, vcc_lo, s17
	s_andn2_b32 exec_lo, exec_lo, s17
	s_cbranch_execz .LBB34_24
.LBB34_8:                               ; =>This Loop Header: Depth=1
                                        ;     Child Loop BB34_12 Depth 2
                                        ;       Child Loop BB34_15 Depth 3
	v_mov_b32_e32 v9, 0
	v_mov_b32_e32 v11, 0
	v_mov_b32_e32 v10, 0
	v_mov_b32_e32 v12, 0
	s_andn2_b32 vcc_lo, exec_lo, s22
	s_cbranch_vccnz .LBB34_19
; %bb.9:                                ;   in Loop: Header=BB34_8 Depth=1
	v_mov_b32_e32 v9, 0
	v_mov_b32_e32 v11, 0
	s_waitcnt lgkmcnt(2)
	v_mov_b32_e32 v22, v18
	v_mov_b32_e32 v10, 0
	v_mov_b32_e32 v12, 0
	v_mov_b32_e32 v21, v17
	s_mov_b64 s[10:11], s[4:5]
	s_branch .LBB34_12
.LBB34_10:                              ;   in Loop: Header=BB34_12 Depth=2
	s_or_b32 exec_lo, exec_lo, s28
.LBB34_11:                              ;   in Loop: Header=BB34_12 Depth=2
	s_or_b32 exec_lo, exec_lo, s26
	s_add_u32 s10, s10, 1
	s_addc_u32 s11, s11, 0
	v_add_co_u32 v21, vcc_lo, v21, s25
	v_cmp_ge_i64_e64 s2, s[10:11], s[6:7]
	v_add_co_ci_u32_e64 v22, null, s24, v22, vcc_lo
	s_and_b32 vcc_lo, exec_lo, s2
	s_cbranch_vccnz .LBB34_19
.LBB34_12:                              ;   Parent Loop BB34_8 Depth=1
                                        ; =>  This Loop Header: Depth=2
                                        ;       Child Loop BB34_15 Depth 3
	s_and_saveexec_b32 s26, s0
	s_cbranch_execz .LBB34_11
; %bb.13:                               ;   in Loop: Header=BB34_12 Depth=2
	s_lshl_b64 s[28:29], s[10:11], 3
	s_mul_i32 s27, s10, s19
	s_add_u32 s28, s12, s28
	s_addc_u32 s29, s13, s29
	v_mov_b32_e32 v26, v16
	s_load_dwordx2 s[28:29], s[28:29], 0x0
	v_mov_b32_e32 v25, v15
	s_mul_i32 s30, s11, s18
	s_waitcnt lgkmcnt(0)
	s_sub_u32 s2, s28, s16
	s_subb_u32 s29, s29, 0
	v_mad_u64_u32 v[23:24], null, s8, s2, v[19:20]
	s_mul_i32 s2, s9, s2
	s_mul_i32 s29, s8, s29
	s_mul_hi_u32 s28, s10, s18
	s_add_i32 s27, s28, s27
	s_mov_b32 s28, 0
	v_add3_u32 v24, s29, s2, v24
	s_add_i32 s27, s27, s30
	s_mul_i32 s29, s10, s18
	s_branch .LBB34_15
.LBB34_14:                              ;   in Loop: Header=BB34_15 Depth=3
	v_lshlrev_b64 v[27:28], 4, v[27:28]
	v_add_co_u32 v27, vcc_lo, s14, v27
	v_add_co_ci_u32_e64 v28, null, s15, v28, vcc_lo
	v_add_co_u32 v25, vcc_lo, v25, 16
	global_load_dwordx4 v[32:35], v[23:24], off offset:-8
	global_load_dwordx4 v[36:39], v[27:28], off
	v_add_co_ci_u32_e64 v26, null, 0, v26, vcc_lo
	v_add_co_u32 v23, s2, 0x100, v23
	v_add_co_ci_u32_e64 v24, null, 0, v24, s2
	v_cmp_le_i64_e32 vcc_lo, s[18:19], v[25:26]
	s_or_b32 s28, vcc_lo, s28
	s_waitcnt vmcnt(0)
	v_fma_f64 v[11:12], v[36:37], v[32:33], v[11:12]
	v_fma_f64 v[9:10], v[38:39], v[32:33], v[9:10]
	v_fma_f64 v[11:12], -v[38:39], v[34:35], v[11:12]
	v_fma_f64 v[9:10], v[36:37], v[34:35], v[9:10]
	s_andn2_b32 exec_lo, exec_lo, s28
	s_cbranch_execz .LBB34_10
.LBB34_15:                              ;   Parent Loop BB34_8 Depth=1
                                        ;     Parent Loop BB34_12 Depth=2
                                        ; =>    This Inner Loop Header: Depth=3
	s_and_b32 vcc_lo, exec_lo, s3
	s_cbranch_vccz .LBB34_17
; %bb.16:                               ;   in Loop: Header=BB34_15 Depth=3
	v_add_co_u32 v27, vcc_lo, v25, s29
	v_add_co_ci_u32_e64 v28, null, s27, v26, vcc_lo
	v_mul_lo_u32 v32, v27, s19
	v_mul_lo_u32 v33, v28, s18
	v_mad_u64_u32 v[27:28], null, v27, s18, v[13:14]
	v_add3_u32 v28, v33, v28, v32
	s_cbranch_execnz .LBB34_14
	s_branch .LBB34_18
.LBB34_17:                              ;   in Loop: Header=BB34_15 Depth=3
                                        ; implicit-def: $vgpr27_vgpr28
.LBB34_18:                              ;   in Loop: Header=BB34_15 Depth=3
	v_add_co_u32 v27, vcc_lo, v21, v25
	v_add_co_ci_u32_e64 v28, null, v22, v26, vcc_lo
	s_branch .LBB34_14
.LBB34_19:                              ;   in Loop: Header=BB34_8 Depth=1
	s_waitcnt lgkmcnt(3)
	ds_bpermute_b32 v21, v0, v11
	s_waitcnt lgkmcnt(3)
	ds_bpermute_b32 v22, v0, v12
	;; [unrolled: 2-line block ×4, first 2 shown]
	s_waitcnt lgkmcnt(2)
	v_add_f64 v[11:12], v[11:12], v[21:22]
	s_waitcnt lgkmcnt(0)
	v_add_f64 v[9:10], v[9:10], v[23:24]
	ds_bpermute_b32 v21, v29, v11
	ds_bpermute_b32 v22, v29, v12
	ds_bpermute_b32 v23, v29, v9
	ds_bpermute_b32 v24, v29, v10
	s_waitcnt lgkmcnt(2)
	v_add_f64 v[11:12], v[11:12], v[21:22]
	s_waitcnt lgkmcnt(0)
	v_add_f64 v[21:22], v[9:10], v[23:24]
	ds_bpermute_b32 v9, v30, v11
	ds_bpermute_b32 v10, v30, v12
	ds_bpermute_b32 v23, v30, v21
	ds_bpermute_b32 v24, v30, v22
	;; [unrolled: 8-line block ×3, first 2 shown]
	s_and_saveexec_b32 s2, s1
	s_cbranch_execz .LBB34_7
; %bb.20:                               ;   in Loop: Header=BB34_8 Depth=1
	s_waitcnt lgkmcnt(0)
	v_add_f64 v[11:12], v[11:12], v[23:24]
	v_add_f64 v[21:22], v[9:10], v[21:22]
	v_mul_f64 v[9:10], v[11:12], -v[3:4]
	v_mul_f64 v[11:12], v[1:2], v[11:12]
	v_fma_f64 v[9:10], v[1:2], v[21:22], v[9:10]
	v_fma_f64 v[11:12], v[3:4], v[21:22], v[11:12]
	v_lshlrev_b64 v[21:22], 4, v[13:14]
	s_and_saveexec_b32 s10, s23
	s_xor_b32 s10, exec_lo, s10
	s_cbranch_execz .LBB34_22
; %bb.21:                               ;   in Loop: Header=BB34_8 Depth=1
	v_add_co_u32 v21, vcc_lo, s20, v21
	v_add_co_ci_u32_e64 v22, null, s21, v22, vcc_lo
	global_store_dwordx4 v[21:22], v[9:12], off
                                        ; implicit-def: $vgpr21_vgpr22
                                        ; implicit-def: $vgpr9_vgpr10
.LBB34_22:                              ;   in Loop: Header=BB34_8 Depth=1
	s_andn2_saveexec_b32 s10, s10
	s_cbranch_execz .LBB34_7
; %bb.23:                               ;   in Loop: Header=BB34_8 Depth=1
	v_add_co_u32 v25, vcc_lo, s20, v21
	v_add_co_ci_u32_e64 v26, null, s21, v22, vcc_lo
	global_load_dwordx4 v[21:24], v[25:26], off
	s_waitcnt vmcnt(0)
	v_fma_f64 v[9:10], v[5:6], v[21:22], v[9:10]
	v_fma_f64 v[11:12], v[7:8], v[21:22], v[11:12]
	v_fma_f64 v[9:10], -v[7:8], v[23:24], v[9:10]
	v_fma_f64 v[11:12], v[5:6], v[23:24], v[11:12]
	global_store_dwordx4 v[25:26], v[9:12], off
	s_branch .LBB34_7
.LBB34_24:
	s_endpgm
	.section	.rodata,"a",@progbits
	.p2align	6, 0x0
	.amdhsa_kernel _ZN9rocsparseL22bsrxmvn_general_kernelILj256ELj16E21rocsparse_complex_numIdEllS2_S2_S2_EEv20rocsparse_direction_NS_24const_host_device_scalarIT1_EET3_PKS7_PKT2_SC_S9_PKT4_S7_PKT5_S6_PT6_21rocsparse_index_base_b
		.amdhsa_group_segment_fixed_size 0
		.amdhsa_private_segment_fixed_size 0
		.amdhsa_kernarg_size 120
		.amdhsa_user_sgpr_count 6
		.amdhsa_user_sgpr_private_segment_buffer 1
		.amdhsa_user_sgpr_dispatch_ptr 0
		.amdhsa_user_sgpr_queue_ptr 0
		.amdhsa_user_sgpr_kernarg_segment_ptr 1
		.amdhsa_user_sgpr_dispatch_id 0
		.amdhsa_user_sgpr_flat_scratch_init 0
		.amdhsa_user_sgpr_private_segment_size 0
		.amdhsa_wavefront_size32 1
		.amdhsa_uses_dynamic_stack 0
		.amdhsa_system_sgpr_private_segment_wavefront_offset 0
		.amdhsa_system_sgpr_workgroup_id_x 1
		.amdhsa_system_sgpr_workgroup_id_y 0
		.amdhsa_system_sgpr_workgroup_id_z 0
		.amdhsa_system_sgpr_workgroup_info 0
		.amdhsa_system_vgpr_workitem_id 0
		.amdhsa_next_free_vgpr 40
		.amdhsa_next_free_sgpr 36
		.amdhsa_reserve_vcc 1
		.amdhsa_reserve_flat_scratch 0
		.amdhsa_float_round_mode_32 0
		.amdhsa_float_round_mode_16_64 0
		.amdhsa_float_denorm_mode_32 3
		.amdhsa_float_denorm_mode_16_64 3
		.amdhsa_dx10_clamp 1
		.amdhsa_ieee_mode 1
		.amdhsa_fp16_overflow 0
		.amdhsa_workgroup_processor_mode 1
		.amdhsa_memory_ordered 1
		.amdhsa_forward_progress 1
		.amdhsa_shared_vgpr_count 0
		.amdhsa_exception_fp_ieee_invalid_op 0
		.amdhsa_exception_fp_denorm_src 0
		.amdhsa_exception_fp_ieee_div_zero 0
		.amdhsa_exception_fp_ieee_overflow 0
		.amdhsa_exception_fp_ieee_underflow 0
		.amdhsa_exception_fp_ieee_inexact 0
		.amdhsa_exception_int_div_zero 0
	.end_amdhsa_kernel
	.section	.text._ZN9rocsparseL22bsrxmvn_general_kernelILj256ELj16E21rocsparse_complex_numIdEllS2_S2_S2_EEv20rocsparse_direction_NS_24const_host_device_scalarIT1_EET3_PKS7_PKT2_SC_S9_PKT4_S7_PKT5_S6_PT6_21rocsparse_index_base_b,"axG",@progbits,_ZN9rocsparseL22bsrxmvn_general_kernelILj256ELj16E21rocsparse_complex_numIdEllS2_S2_S2_EEv20rocsparse_direction_NS_24const_host_device_scalarIT1_EET3_PKS7_PKT2_SC_S9_PKT4_S7_PKT5_S6_PT6_21rocsparse_index_base_b,comdat
.Lfunc_end34:
	.size	_ZN9rocsparseL22bsrxmvn_general_kernelILj256ELj16E21rocsparse_complex_numIdEllS2_S2_S2_EEv20rocsparse_direction_NS_24const_host_device_scalarIT1_EET3_PKS7_PKT2_SC_S9_PKT4_S7_PKT5_S6_PT6_21rocsparse_index_base_b, .Lfunc_end34-_ZN9rocsparseL22bsrxmvn_general_kernelILj256ELj16E21rocsparse_complex_numIdEllS2_S2_S2_EEv20rocsparse_direction_NS_24const_host_device_scalarIT1_EET3_PKS7_PKT2_SC_S9_PKT4_S7_PKT5_S6_PT6_21rocsparse_index_base_b
                                        ; -- End function
	.set _ZN9rocsparseL22bsrxmvn_general_kernelILj256ELj16E21rocsparse_complex_numIdEllS2_S2_S2_EEv20rocsparse_direction_NS_24const_host_device_scalarIT1_EET3_PKS7_PKT2_SC_S9_PKT4_S7_PKT5_S6_PT6_21rocsparse_index_base_b.num_vgpr, 40
	.set _ZN9rocsparseL22bsrxmvn_general_kernelILj256ELj16E21rocsparse_complex_numIdEllS2_S2_S2_EEv20rocsparse_direction_NS_24const_host_device_scalarIT1_EET3_PKS7_PKT2_SC_S9_PKT4_S7_PKT5_S6_PT6_21rocsparse_index_base_b.num_agpr, 0
	.set _ZN9rocsparseL22bsrxmvn_general_kernelILj256ELj16E21rocsparse_complex_numIdEllS2_S2_S2_EEv20rocsparse_direction_NS_24const_host_device_scalarIT1_EET3_PKS7_PKT2_SC_S9_PKT4_S7_PKT5_S6_PT6_21rocsparse_index_base_b.numbered_sgpr, 36
	.set _ZN9rocsparseL22bsrxmvn_general_kernelILj256ELj16E21rocsparse_complex_numIdEllS2_S2_S2_EEv20rocsparse_direction_NS_24const_host_device_scalarIT1_EET3_PKS7_PKT2_SC_S9_PKT4_S7_PKT5_S6_PT6_21rocsparse_index_base_b.num_named_barrier, 0
	.set _ZN9rocsparseL22bsrxmvn_general_kernelILj256ELj16E21rocsparse_complex_numIdEllS2_S2_S2_EEv20rocsparse_direction_NS_24const_host_device_scalarIT1_EET3_PKS7_PKT2_SC_S9_PKT4_S7_PKT5_S6_PT6_21rocsparse_index_base_b.private_seg_size, 0
	.set _ZN9rocsparseL22bsrxmvn_general_kernelILj256ELj16E21rocsparse_complex_numIdEllS2_S2_S2_EEv20rocsparse_direction_NS_24const_host_device_scalarIT1_EET3_PKS7_PKT2_SC_S9_PKT4_S7_PKT5_S6_PT6_21rocsparse_index_base_b.uses_vcc, 1
	.set _ZN9rocsparseL22bsrxmvn_general_kernelILj256ELj16E21rocsparse_complex_numIdEllS2_S2_S2_EEv20rocsparse_direction_NS_24const_host_device_scalarIT1_EET3_PKS7_PKT2_SC_S9_PKT4_S7_PKT5_S6_PT6_21rocsparse_index_base_b.uses_flat_scratch, 0
	.set _ZN9rocsparseL22bsrxmvn_general_kernelILj256ELj16E21rocsparse_complex_numIdEllS2_S2_S2_EEv20rocsparse_direction_NS_24const_host_device_scalarIT1_EET3_PKS7_PKT2_SC_S9_PKT4_S7_PKT5_S6_PT6_21rocsparse_index_base_b.has_dyn_sized_stack, 0
	.set _ZN9rocsparseL22bsrxmvn_general_kernelILj256ELj16E21rocsparse_complex_numIdEllS2_S2_S2_EEv20rocsparse_direction_NS_24const_host_device_scalarIT1_EET3_PKS7_PKT2_SC_S9_PKT4_S7_PKT5_S6_PT6_21rocsparse_index_base_b.has_recursion, 0
	.set _ZN9rocsparseL22bsrxmvn_general_kernelILj256ELj16E21rocsparse_complex_numIdEllS2_S2_S2_EEv20rocsparse_direction_NS_24const_host_device_scalarIT1_EET3_PKS7_PKT2_SC_S9_PKT4_S7_PKT5_S6_PT6_21rocsparse_index_base_b.has_indirect_call, 0
	.section	.AMDGPU.csdata,"",@progbits
; Kernel info:
; codeLenInByte = 1584
; TotalNumSgprs: 38
; NumVgprs: 40
; ScratchSize: 0
; MemoryBound: 0
; FloatMode: 240
; IeeeMode: 1
; LDSByteSize: 0 bytes/workgroup (compile time only)
; SGPRBlocks: 0
; VGPRBlocks: 4
; NumSGPRsForWavesPerEU: 38
; NumVGPRsForWavesPerEU: 40
; Occupancy: 16
; WaveLimiterHint : 0
; COMPUTE_PGM_RSRC2:SCRATCH_EN: 0
; COMPUTE_PGM_RSRC2:USER_SGPR: 6
; COMPUTE_PGM_RSRC2:TRAP_HANDLER: 0
; COMPUTE_PGM_RSRC2:TGID_X_EN: 1
; COMPUTE_PGM_RSRC2:TGID_Y_EN: 0
; COMPUTE_PGM_RSRC2:TGID_Z_EN: 0
; COMPUTE_PGM_RSRC2:TIDIG_COMP_CNT: 0
	.section	.text._ZN9rocsparseL22bsrxmvn_general_kernelILj1024ELj32E21rocsparse_complex_numIdEllS2_S2_S2_EEv20rocsparse_direction_NS_24const_host_device_scalarIT1_EET3_PKS7_PKT2_SC_S9_PKT4_S7_PKT5_S6_PT6_21rocsparse_index_base_b,"axG",@progbits,_ZN9rocsparseL22bsrxmvn_general_kernelILj1024ELj32E21rocsparse_complex_numIdEllS2_S2_S2_EEv20rocsparse_direction_NS_24const_host_device_scalarIT1_EET3_PKS7_PKT2_SC_S9_PKT4_S7_PKT5_S6_PT6_21rocsparse_index_base_b,comdat
	.globl	_ZN9rocsparseL22bsrxmvn_general_kernelILj1024ELj32E21rocsparse_complex_numIdEllS2_S2_S2_EEv20rocsparse_direction_NS_24const_host_device_scalarIT1_EET3_PKS7_PKT2_SC_S9_PKT4_S7_PKT5_S6_PT6_21rocsparse_index_base_b ; -- Begin function _ZN9rocsparseL22bsrxmvn_general_kernelILj1024ELj32E21rocsparse_complex_numIdEllS2_S2_S2_EEv20rocsparse_direction_NS_24const_host_device_scalarIT1_EET3_PKS7_PKT2_SC_S9_PKT4_S7_PKT5_S6_PT6_21rocsparse_index_base_b
	.p2align	8
	.type	_ZN9rocsparseL22bsrxmvn_general_kernelILj1024ELj32E21rocsparse_complex_numIdEllS2_S2_S2_EEv20rocsparse_direction_NS_24const_host_device_scalarIT1_EET3_PKS7_PKT2_SC_S9_PKT4_S7_PKT5_S6_PT6_21rocsparse_index_base_b,@function
_ZN9rocsparseL22bsrxmvn_general_kernelILj1024ELj32E21rocsparse_complex_numIdEllS2_S2_S2_EEv20rocsparse_direction_NS_24const_host_device_scalarIT1_EET3_PKS7_PKT2_SC_S9_PKT4_S7_PKT5_S6_PT6_21rocsparse_index_base_b: ; @_ZN9rocsparseL22bsrxmvn_general_kernelILj1024ELj32E21rocsparse_complex_numIdEllS2_S2_S2_EEv20rocsparse_direction_NS_24const_host_device_scalarIT1_EET3_PKS7_PKT2_SC_S9_PKT4_S7_PKT5_S6_PT6_21rocsparse_index_base_b
; %bb.0:
	s_clause 0x1
	s_load_dwordx2 s[16:17], s[4:5], 0x70
	s_load_dwordx2 s[0:1], s[4:5], 0x8
	s_add_u32 s7, s4, 8
	s_addc_u32 s8, s5, 0
	s_add_u32 s9, s4, 0x58
	s_addc_u32 s10, s5, 0
	s_load_dwordx2 s[2:3], s[4:5], 0x58
	s_waitcnt lgkmcnt(0)
	s_bitcmp1_b32 s17, 0
	s_cselect_b32 s0, s7, s0
	s_cselect_b32 s1, s8, s1
	v_mov_b32_e32 v1, s0
	v_mov_b32_e32 v2, s1
	s_cselect_b32 s0, s9, s2
	s_cselect_b32 s1, s10, s3
	v_mov_b32_e32 v5, s0
	v_mov_b32_e32 v6, s1
	flat_load_dwordx4 v[1:4], v[1:2]
	flat_load_dwordx4 v[5:8], v[5:6]
	s_waitcnt vmcnt(1) lgkmcnt(1)
	v_cmp_eq_f64_e32 vcc_lo, 0, v[1:2]
	v_cmp_eq_f64_e64 s0, 0, v[3:4]
	s_and_b32 s2, vcc_lo, s0
	s_mov_b32 s0, -1
	s_and_saveexec_b32 s1, s2
	s_cbranch_execz .LBB35_2
; %bb.1:
	s_waitcnt vmcnt(0) lgkmcnt(0)
	v_cmp_neq_f64_e32 vcc_lo, 1.0, v[5:6]
	v_cmp_neq_f64_e64 s0, 0, v[7:8]
	s_or_b32 s0, vcc_lo, s0
	s_orn2_b32 s0, s0, exec_lo
.LBB35_2:
	s_or_b32 exec_lo, exec_lo, s1
	s_and_saveexec_b32 s1, s0
	s_cbranch_execz .LBB35_24
; %bb.3:
	s_load_dwordx2 s[0:1], s[4:5], 0x20
	s_mov_b32 s7, 0
	s_waitcnt lgkmcnt(0)
	s_cmp_eq_u64 s[0:1], 0
	s_cbranch_scc1 .LBB35_5
; %bb.4:
	s_lshl_b64 s[2:3], s[6:7], 3
	s_add_u32 s0, s0, s2
	s_addc_u32 s1, s1, s3
	s_load_dwordx2 s[0:1], s[0:1], 0x0
	s_waitcnt lgkmcnt(0)
	s_sub_u32 s6, s0, s16
	s_subb_u32 s7, s1, 0
.LBB35_5:
	s_load_dwordx2 s[18:19], s[4:5], 0x48
	v_lshrrev_b32_e32 v13, 5, v0
	v_mov_b32_e32 v14, 0
	s_waitcnt lgkmcnt(0)
	v_cmp_gt_i64_e32 vcc_lo, s[18:19], v[13:14]
	s_and_b32 exec_lo, exec_lo, vcc_lo
	s_cbranch_execz .LBB35_24
; %bb.6:
	s_clause 0x2
	s_load_dwordx8 s[8:15], s[4:5], 0x28
	s_load_dwordx2 s[20:21], s[4:5], 0x68
	s_load_dwordx2 s[22:23], s[4:5], 0x50
	s_lshl_b64 s[24:25], s[6:7], 3
	v_and_b32_e32 v15, 31, v0
	v_mbcnt_lo_u32_b32 v0, -1, 0
	s_load_dword s29, s[4:5], 0x0
	s_mul_i32 s30, s6, s19
	s_mul_hi_u32 s31, s6, s18
	s_mul_i32 s28, s6, s18
	v_xor_b32_e32 v9, 16, v0
	v_xor_b32_e32 v10, 8, v0
	s_mul_i32 s33, s7, s18
	v_xor_b32_e32 v11, 4, v0
	v_xor_b32_e32 v12, 2, v0
	v_cmp_gt_i32_e64 s3, 32, v9
	v_xor_b32_e32 v17, 1, v0
	s_waitcnt vmcnt(0)
	v_cmp_eq_f64_e32 vcc_lo, 0, v[5:6]
	v_cmp_eq_f64_e64 s2, 0, v[7:8]
	v_lshlrev_b32_e32 v18, 4, v15
	s_waitcnt lgkmcnt(0)
	s_add_u32 s8, s8, s24
	s_addc_u32 s9, s9, s25
	v_cndmask_b32_e64 v19, v0, v9, s3
	s_load_dwordx2 s[26:27], s[8:9], 0x0
	v_cmp_gt_i32_e64 s3, 32, v10
	v_mov_b32_e32 v16, v14
	s_mul_i32 s34, s18, s19
	s_mul_hi_u32 s35, s18, s18
	v_cmp_eq_u32_e64 s1, 31, v15
	v_cndmask_b32_e64 v20, v0, v10, s3
	v_cmp_gt_i32_e64 s3, 32, v11
	v_cmp_gt_u64_e64 s0, s[18:19], v[15:16]
	s_mov_b32 s17, 0
	v_lshlrev_b32_e32 v29, 2, v20
	v_cndmask_b32_e64 v11, v0, v11, s3
	v_cmp_gt_i32_e64 s3, 32, v12
	v_lshlrev_b32_e32 v30, 2, v11
	v_cndmask_b32_e64 v12, v0, v12, s3
	v_cmp_gt_i32_e64 s3, 32, v17
	s_waitcnt lgkmcnt(0)
	s_sub_u32 s4, s26, s16
	s_subb_u32 s5, s27, 0
	s_add_u32 s6, s8, 8
	s_addc_u32 s7, s9, 0
	s_add_u32 s8, s10, s24
	s_addc_u32 s9, s11, s25
	s_cmp_eq_u64 s[10:11], 0
	v_mad_u64_u32 v[9:10], null, s18, s4, v[13:14]
	s_cselect_b32 s7, s7, s9
	s_cselect_b32 s6, s6, s8
	v_cndmask_b32_e64 v17, v0, v17, s3
	s_load_dwordx2 s[8:9], s[6:7], 0x0
	s_mul_i32 s3, s19, s4
	s_mul_i32 s6, s18, s5
	v_lshlrev_b32_e32 v31, 2, v12
	v_add3_u32 v10, s6, s3, v10
	v_add_co_u32 v11, s3, s22, v18
	v_add_co_ci_u32_e64 v12, null, s23, 0, s3
	v_lshlrev_b32_e32 v0, 2, v19
	v_lshlrev_b32_e32 v32, 2, v17
	v_mul_lo_u32 v21, s19, v9
	v_mad_u64_u32 v[17:18], null, s18, v9, 0
	v_mul_lo_u32 v9, s18, v10
	v_add_co_u32 v19, s3, v11, 8
	v_add_co_ci_u32_e64 v20, null, 0, v12, s3
	s_waitcnt lgkmcnt(0)
	s_sub_u32 s6, s8, s16
	s_subb_u32 s7, s9, 0
	s_cmp_lg_u32 s29, 0
	v_cmp_lt_i64_e64 s22, s[26:27], s[8:9]
	s_cselect_b32 s3, -1, 0
	s_add_i32 s10, s31, s30
	s_and_b32 s23, vcc_lo, s2
	s_add_i32 s29, s10, s33
	v_add3_u32 v18, v18, v9, v21
	s_lshl_b64 s[8:9], s[28:29], 4
	s_mul_i32 s27, s18, s18
	s_add_u32 s24, s20, s8
	s_addc_u32 s25, s21, s9
	s_add_i32 s2, s35, s34
	s_lshl_b64 s[8:9], s[18:19], 4
	s_lshl_b64 s[10:11], s[18:19], 5
	s_add_i32 s26, s2, s34
	s_branch .LBB35_8
.LBB35_7:                               ;   in Loop: Header=BB35_8 Depth=1
	s_or_b32 exec_lo, exec_lo, s2
	v_add_co_u32 v13, vcc_lo, v13, 32
	v_add_co_ci_u32_e64 v14, null, 0, v14, vcc_lo
	v_add_co_u32 v17, s2, v17, s10
	v_add_co_ci_u32_e64 v18, null, s11, v18, s2
	v_cmp_le_i64_e32 vcc_lo, s[18:19], v[13:14]
	s_or_b32 s17, vcc_lo, s17
	s_andn2_b32 exec_lo, exec_lo, s17
	s_cbranch_execz .LBB35_24
.LBB35_8:                               ; =>This Loop Header: Depth=1
                                        ;     Child Loop BB35_12 Depth 2
                                        ;       Child Loop BB35_15 Depth 3
	v_mov_b32_e32 v9, 0
	v_mov_b32_e32 v11, 0
	;; [unrolled: 1-line block ×4, first 2 shown]
	s_andn2_b32 vcc_lo, exec_lo, s22
	s_cbranch_vccnz .LBB35_19
; %bb.9:                                ;   in Loop: Header=BB35_8 Depth=1
	v_mov_b32_e32 v9, 0
	v_mov_b32_e32 v11, 0
	s_waitcnt lgkmcnt(2)
	v_mov_b32_e32 v22, v18
	v_mov_b32_e32 v10, 0
	;; [unrolled: 1-line block ×4, first 2 shown]
	s_mov_b64 s[20:21], s[4:5]
	s_branch .LBB35_12
.LBB35_10:                              ;   in Loop: Header=BB35_12 Depth=2
	s_or_b32 exec_lo, exec_lo, s30
.LBB35_11:                              ;   in Loop: Header=BB35_12 Depth=2
	s_or_b32 exec_lo, exec_lo, s28
	s_add_u32 s20, s20, 1
	s_addc_u32 s21, s21, 0
	v_add_co_u32 v21, vcc_lo, v21, s27
	v_cmp_ge_i64_e64 s2, s[20:21], s[6:7]
	v_add_co_ci_u32_e64 v22, null, s26, v22, vcc_lo
	s_and_b32 vcc_lo, exec_lo, s2
	s_cbranch_vccnz .LBB35_19
.LBB35_12:                              ;   Parent Loop BB35_8 Depth=1
                                        ; =>  This Loop Header: Depth=2
                                        ;       Child Loop BB35_15 Depth 3
	s_and_saveexec_b32 s28, s0
	s_cbranch_execz .LBB35_11
; %bb.13:                               ;   in Loop: Header=BB35_12 Depth=2
	s_lshl_b64 s[30:31], s[20:21], 3
	s_mul_i32 s29, s20, s19
	s_add_u32 s30, s12, s30
	s_addc_u32 s31, s13, s31
	v_mov_b32_e32 v26, v16
	s_load_dwordx2 s[30:31], s[30:31], 0x0
	v_mov_b32_e32 v25, v15
	s_mul_i32 s33, s21, s18
	s_waitcnt lgkmcnt(0)
	s_sub_u32 s2, s30, s16
	s_subb_u32 s31, s31, 0
	v_mad_u64_u32 v[23:24], null, s8, s2, v[19:20]
	s_mul_i32 s2, s9, s2
	s_mul_i32 s31, s8, s31
	s_mul_hi_u32 s30, s20, s18
	s_add_i32 s29, s30, s29
	s_mov_b32 s30, 0
	v_add3_u32 v24, s31, s2, v24
	s_add_i32 s29, s29, s33
	s_mul_i32 s31, s20, s18
	s_branch .LBB35_15
.LBB35_14:                              ;   in Loop: Header=BB35_15 Depth=3
	v_lshlrev_b64 v[27:28], 4, v[27:28]
	v_add_co_u32 v27, vcc_lo, s14, v27
	v_add_co_ci_u32_e64 v28, null, s15, v28, vcc_lo
	v_add_co_u32 v25, vcc_lo, v25, 32
	global_load_dwordx4 v[33:36], v[23:24], off offset:-8
	global_load_dwordx4 v[37:40], v[27:28], off
	v_add_co_ci_u32_e64 v26, null, 0, v26, vcc_lo
	v_add_co_u32 v23, s2, 0x200, v23
	v_add_co_ci_u32_e64 v24, null, 0, v24, s2
	v_cmp_le_i64_e32 vcc_lo, s[18:19], v[25:26]
	s_or_b32 s30, vcc_lo, s30
	s_waitcnt vmcnt(0)
	v_fma_f64 v[11:12], v[37:38], v[33:34], v[11:12]
	v_fma_f64 v[9:10], v[39:40], v[33:34], v[9:10]
	v_fma_f64 v[11:12], -v[39:40], v[35:36], v[11:12]
	v_fma_f64 v[9:10], v[37:38], v[35:36], v[9:10]
	s_andn2_b32 exec_lo, exec_lo, s30
	s_cbranch_execz .LBB35_10
.LBB35_15:                              ;   Parent Loop BB35_8 Depth=1
                                        ;     Parent Loop BB35_12 Depth=2
                                        ; =>    This Inner Loop Header: Depth=3
	s_and_b32 vcc_lo, exec_lo, s3
	s_cbranch_vccz .LBB35_17
; %bb.16:                               ;   in Loop: Header=BB35_15 Depth=3
	v_add_co_u32 v27, vcc_lo, v25, s31
	v_add_co_ci_u32_e64 v28, null, s29, v26, vcc_lo
	v_mul_lo_u32 v33, v27, s19
	v_mul_lo_u32 v34, v28, s18
	v_mad_u64_u32 v[27:28], null, v27, s18, v[13:14]
	v_add3_u32 v28, v34, v28, v33
	s_cbranch_execnz .LBB35_14
	s_branch .LBB35_18
.LBB35_17:                              ;   in Loop: Header=BB35_15 Depth=3
                                        ; implicit-def: $vgpr27_vgpr28
.LBB35_18:                              ;   in Loop: Header=BB35_15 Depth=3
	v_add_co_u32 v27, vcc_lo, v21, v25
	v_add_co_ci_u32_e64 v28, null, v22, v26, vcc_lo
	s_branch .LBB35_14
.LBB35_19:                              ;   in Loop: Header=BB35_8 Depth=1
	s_waitcnt lgkmcnt(3)
	ds_bpermute_b32 v21, v0, v11
	s_waitcnt lgkmcnt(3)
	ds_bpermute_b32 v22, v0, v12
	;; [unrolled: 2-line block ×4, first 2 shown]
	s_waitcnt lgkmcnt(2)
	v_add_f64 v[11:12], v[11:12], v[21:22]
	s_waitcnt lgkmcnt(0)
	v_add_f64 v[9:10], v[9:10], v[23:24]
	ds_bpermute_b32 v21, v29, v11
	ds_bpermute_b32 v22, v29, v12
	ds_bpermute_b32 v23, v29, v9
	ds_bpermute_b32 v24, v29, v10
	s_waitcnt lgkmcnt(2)
	v_add_f64 v[11:12], v[11:12], v[21:22]
	s_waitcnt lgkmcnt(0)
	v_add_f64 v[9:10], v[9:10], v[23:24]
	ds_bpermute_b32 v21, v30, v11
	ds_bpermute_b32 v22, v30, v12
	ds_bpermute_b32 v23, v30, v9
	ds_bpermute_b32 v24, v30, v10
	;; [unrolled: 8-line block ×4, first 2 shown]
	s_and_saveexec_b32 s2, s1
	s_cbranch_execz .LBB35_7
; %bb.20:                               ;   in Loop: Header=BB35_8 Depth=1
	s_waitcnt lgkmcnt(0)
	v_add_f64 v[11:12], v[11:12], v[23:24]
	v_add_f64 v[21:22], v[9:10], v[21:22]
	v_mul_f64 v[9:10], v[11:12], -v[3:4]
	v_mul_f64 v[11:12], v[1:2], v[11:12]
	v_fma_f64 v[9:10], v[1:2], v[21:22], v[9:10]
	v_fma_f64 v[11:12], v[3:4], v[21:22], v[11:12]
	v_lshlrev_b64 v[21:22], 4, v[13:14]
	s_and_saveexec_b32 s20, s23
	s_xor_b32 s20, exec_lo, s20
	s_cbranch_execz .LBB35_22
; %bb.21:                               ;   in Loop: Header=BB35_8 Depth=1
	v_add_co_u32 v21, vcc_lo, s24, v21
	v_add_co_ci_u32_e64 v22, null, s25, v22, vcc_lo
	global_store_dwordx4 v[21:22], v[9:12], off
                                        ; implicit-def: $vgpr21_vgpr22
                                        ; implicit-def: $vgpr9_vgpr10
.LBB35_22:                              ;   in Loop: Header=BB35_8 Depth=1
	s_andn2_saveexec_b32 s20, s20
	s_cbranch_execz .LBB35_7
; %bb.23:                               ;   in Loop: Header=BB35_8 Depth=1
	v_add_co_u32 v25, vcc_lo, s24, v21
	v_add_co_ci_u32_e64 v26, null, s25, v22, vcc_lo
	global_load_dwordx4 v[21:24], v[25:26], off
	s_waitcnt vmcnt(0)
	v_fma_f64 v[9:10], v[5:6], v[21:22], v[9:10]
	v_fma_f64 v[11:12], v[7:8], v[21:22], v[11:12]
	v_fma_f64 v[9:10], -v[7:8], v[23:24], v[9:10]
	v_fma_f64 v[11:12], v[5:6], v[23:24], v[11:12]
	global_store_dwordx4 v[25:26], v[9:12], off
	s_branch .LBB35_7
.LBB35_24:
	s_endpgm
	.section	.rodata,"a",@progbits
	.p2align	6, 0x0
	.amdhsa_kernel _ZN9rocsparseL22bsrxmvn_general_kernelILj1024ELj32E21rocsparse_complex_numIdEllS2_S2_S2_EEv20rocsparse_direction_NS_24const_host_device_scalarIT1_EET3_PKS7_PKT2_SC_S9_PKT4_S7_PKT5_S6_PT6_21rocsparse_index_base_b
		.amdhsa_group_segment_fixed_size 0
		.amdhsa_private_segment_fixed_size 0
		.amdhsa_kernarg_size 120
		.amdhsa_user_sgpr_count 6
		.amdhsa_user_sgpr_private_segment_buffer 1
		.amdhsa_user_sgpr_dispatch_ptr 0
		.amdhsa_user_sgpr_queue_ptr 0
		.amdhsa_user_sgpr_kernarg_segment_ptr 1
		.amdhsa_user_sgpr_dispatch_id 0
		.amdhsa_user_sgpr_flat_scratch_init 0
		.amdhsa_user_sgpr_private_segment_size 0
		.amdhsa_wavefront_size32 1
		.amdhsa_uses_dynamic_stack 0
		.amdhsa_system_sgpr_private_segment_wavefront_offset 0
		.amdhsa_system_sgpr_workgroup_id_x 1
		.amdhsa_system_sgpr_workgroup_id_y 0
		.amdhsa_system_sgpr_workgroup_id_z 0
		.amdhsa_system_sgpr_workgroup_info 0
		.amdhsa_system_vgpr_workitem_id 0
		.amdhsa_next_free_vgpr 41
		.amdhsa_next_free_sgpr 36
		.amdhsa_reserve_vcc 1
		.amdhsa_reserve_flat_scratch 0
		.amdhsa_float_round_mode_32 0
		.amdhsa_float_round_mode_16_64 0
		.amdhsa_float_denorm_mode_32 3
		.amdhsa_float_denorm_mode_16_64 3
		.amdhsa_dx10_clamp 1
		.amdhsa_ieee_mode 1
		.amdhsa_fp16_overflow 0
		.amdhsa_workgroup_processor_mode 1
		.amdhsa_memory_ordered 1
		.amdhsa_forward_progress 1
		.amdhsa_shared_vgpr_count 0
		.amdhsa_exception_fp_ieee_invalid_op 0
		.amdhsa_exception_fp_denorm_src 0
		.amdhsa_exception_fp_ieee_div_zero 0
		.amdhsa_exception_fp_ieee_overflow 0
		.amdhsa_exception_fp_ieee_underflow 0
		.amdhsa_exception_fp_ieee_inexact 0
		.amdhsa_exception_int_div_zero 0
	.end_amdhsa_kernel
	.section	.text._ZN9rocsparseL22bsrxmvn_general_kernelILj1024ELj32E21rocsparse_complex_numIdEllS2_S2_S2_EEv20rocsparse_direction_NS_24const_host_device_scalarIT1_EET3_PKS7_PKT2_SC_S9_PKT4_S7_PKT5_S6_PT6_21rocsparse_index_base_b,"axG",@progbits,_ZN9rocsparseL22bsrxmvn_general_kernelILj1024ELj32E21rocsparse_complex_numIdEllS2_S2_S2_EEv20rocsparse_direction_NS_24const_host_device_scalarIT1_EET3_PKS7_PKT2_SC_S9_PKT4_S7_PKT5_S6_PT6_21rocsparse_index_base_b,comdat
.Lfunc_end35:
	.size	_ZN9rocsparseL22bsrxmvn_general_kernelILj1024ELj32E21rocsparse_complex_numIdEllS2_S2_S2_EEv20rocsparse_direction_NS_24const_host_device_scalarIT1_EET3_PKS7_PKT2_SC_S9_PKT4_S7_PKT5_S6_PT6_21rocsparse_index_base_b, .Lfunc_end35-_ZN9rocsparseL22bsrxmvn_general_kernelILj1024ELj32E21rocsparse_complex_numIdEllS2_S2_S2_EEv20rocsparse_direction_NS_24const_host_device_scalarIT1_EET3_PKS7_PKT2_SC_S9_PKT4_S7_PKT5_S6_PT6_21rocsparse_index_base_b
                                        ; -- End function
	.set _ZN9rocsparseL22bsrxmvn_general_kernelILj1024ELj32E21rocsparse_complex_numIdEllS2_S2_S2_EEv20rocsparse_direction_NS_24const_host_device_scalarIT1_EET3_PKS7_PKT2_SC_S9_PKT4_S7_PKT5_S6_PT6_21rocsparse_index_base_b.num_vgpr, 41
	.set _ZN9rocsparseL22bsrxmvn_general_kernelILj1024ELj32E21rocsparse_complex_numIdEllS2_S2_S2_EEv20rocsparse_direction_NS_24const_host_device_scalarIT1_EET3_PKS7_PKT2_SC_S9_PKT4_S7_PKT5_S6_PT6_21rocsparse_index_base_b.num_agpr, 0
	.set _ZN9rocsparseL22bsrxmvn_general_kernelILj1024ELj32E21rocsparse_complex_numIdEllS2_S2_S2_EEv20rocsparse_direction_NS_24const_host_device_scalarIT1_EET3_PKS7_PKT2_SC_S9_PKT4_S7_PKT5_S6_PT6_21rocsparse_index_base_b.numbered_sgpr, 36
	.set _ZN9rocsparseL22bsrxmvn_general_kernelILj1024ELj32E21rocsparse_complex_numIdEllS2_S2_S2_EEv20rocsparse_direction_NS_24const_host_device_scalarIT1_EET3_PKS7_PKT2_SC_S9_PKT4_S7_PKT5_S6_PT6_21rocsparse_index_base_b.num_named_barrier, 0
	.set _ZN9rocsparseL22bsrxmvn_general_kernelILj1024ELj32E21rocsparse_complex_numIdEllS2_S2_S2_EEv20rocsparse_direction_NS_24const_host_device_scalarIT1_EET3_PKS7_PKT2_SC_S9_PKT4_S7_PKT5_S6_PT6_21rocsparse_index_base_b.private_seg_size, 0
	.set _ZN9rocsparseL22bsrxmvn_general_kernelILj1024ELj32E21rocsparse_complex_numIdEllS2_S2_S2_EEv20rocsparse_direction_NS_24const_host_device_scalarIT1_EET3_PKS7_PKT2_SC_S9_PKT4_S7_PKT5_S6_PT6_21rocsparse_index_base_b.uses_vcc, 1
	.set _ZN9rocsparseL22bsrxmvn_general_kernelILj1024ELj32E21rocsparse_complex_numIdEllS2_S2_S2_EEv20rocsparse_direction_NS_24const_host_device_scalarIT1_EET3_PKS7_PKT2_SC_S9_PKT4_S7_PKT5_S6_PT6_21rocsparse_index_base_b.uses_flat_scratch, 0
	.set _ZN9rocsparseL22bsrxmvn_general_kernelILj1024ELj32E21rocsparse_complex_numIdEllS2_S2_S2_EEv20rocsparse_direction_NS_24const_host_device_scalarIT1_EET3_PKS7_PKT2_SC_S9_PKT4_S7_PKT5_S6_PT6_21rocsparse_index_base_b.has_dyn_sized_stack, 0
	.set _ZN9rocsparseL22bsrxmvn_general_kernelILj1024ELj32E21rocsparse_complex_numIdEllS2_S2_S2_EEv20rocsparse_direction_NS_24const_host_device_scalarIT1_EET3_PKS7_PKT2_SC_S9_PKT4_S7_PKT5_S6_PT6_21rocsparse_index_base_b.has_recursion, 0
	.set _ZN9rocsparseL22bsrxmvn_general_kernelILj1024ELj32E21rocsparse_complex_numIdEllS2_S2_S2_EEv20rocsparse_direction_NS_24const_host_device_scalarIT1_EET3_PKS7_PKT2_SC_S9_PKT4_S7_PKT5_S6_PT6_21rocsparse_index_base_b.has_indirect_call, 0
	.section	.AMDGPU.csdata,"",@progbits
; Kernel info:
; codeLenInByte = 1668
; TotalNumSgprs: 38
; NumVgprs: 41
; ScratchSize: 0
; MemoryBound: 0
; FloatMode: 240
; IeeeMode: 1
; LDSByteSize: 0 bytes/workgroup (compile time only)
; SGPRBlocks: 0
; VGPRBlocks: 5
; NumSGPRsForWavesPerEU: 38
; NumVGPRsForWavesPerEU: 41
; Occupancy: 16
; WaveLimiterHint : 0
; COMPUTE_PGM_RSRC2:SCRATCH_EN: 0
; COMPUTE_PGM_RSRC2:USER_SGPR: 6
; COMPUTE_PGM_RSRC2:TRAP_HANDLER: 0
; COMPUTE_PGM_RSRC2:TGID_X_EN: 1
; COMPUTE_PGM_RSRC2:TGID_Y_EN: 0
; COMPUTE_PGM_RSRC2:TGID_Z_EN: 0
; COMPUTE_PGM_RSRC2:TIDIG_COMP_CNT: 0
	.section	.text._ZN9rocsparseL22bsrxmvn_general_kernelILj64ELj8EiiiaaiEEv20rocsparse_direction_NS_24const_host_device_scalarIT1_EET3_PKS5_PKT2_SA_S7_PKT4_S5_PKT5_S4_PT6_21rocsparse_index_base_b,"axG",@progbits,_ZN9rocsparseL22bsrxmvn_general_kernelILj64ELj8EiiiaaiEEv20rocsparse_direction_NS_24const_host_device_scalarIT1_EET3_PKS5_PKT2_SA_S7_PKT4_S5_PKT5_S4_PT6_21rocsparse_index_base_b,comdat
	.globl	_ZN9rocsparseL22bsrxmvn_general_kernelILj64ELj8EiiiaaiEEv20rocsparse_direction_NS_24const_host_device_scalarIT1_EET3_PKS5_PKT2_SA_S7_PKT4_S5_PKT5_S4_PT6_21rocsparse_index_base_b ; -- Begin function _ZN9rocsparseL22bsrxmvn_general_kernelILj64ELj8EiiiaaiEEv20rocsparse_direction_NS_24const_host_device_scalarIT1_EET3_PKS5_PKT2_SA_S7_PKT4_S5_PKT5_S4_PT6_21rocsparse_index_base_b
	.p2align	8
	.type	_ZN9rocsparseL22bsrxmvn_general_kernelILj64ELj8EiiiaaiEEv20rocsparse_direction_NS_24const_host_device_scalarIT1_EET3_PKS5_PKT2_SA_S7_PKT4_S5_PKT5_S4_PT6_21rocsparse_index_base_b,@function
_ZN9rocsparseL22bsrxmvn_general_kernelILj64ELj8EiiiaaiEEv20rocsparse_direction_NS_24const_host_device_scalarIT1_EET3_PKS5_PKT2_SA_S7_PKT4_S5_PKT5_S4_PT6_21rocsparse_index_base_b: ; @_ZN9rocsparseL22bsrxmvn_general_kernelILj64ELj8EiiiaaiEEv20rocsparse_direction_NS_24const_host_device_scalarIT1_EET3_PKS5_PKT2_SA_S7_PKT4_S5_PKT5_S4_PT6_21rocsparse_index_base_b
; %bb.0:
	s_clause 0x1
	s_load_dwordx2 s[2:3], s[4:5], 0x60
	s_load_dwordx2 s[8:9], s[4:5], 0x8
	s_mov_b32 s10, -1
	s_waitcnt lgkmcnt(0)
	s_bitcmp1_b32 s3, 0
                                        ; implicit-def: $sgpr3
	s_cselect_b32 s0, -1, 0
	s_xor_b32 s7, s0, -1
	s_and_b32 vcc_lo, exec_lo, s7
	s_cbranch_vccnz .LBB36_4
; %bb.1:
	s_load_dwordx2 s[0:1], s[4:5], 0x50
	s_andn2_b32 vcc_lo, exec_lo, s10
	s_cbranch_vccz .LBB36_5
.LBB36_2:
	s_and_b32 vcc_lo, exec_lo, s7
	s_cbranch_vccz .LBB36_6
.LBB36_3:
	s_waitcnt lgkmcnt(0)
	s_load_dword s18, s[0:1], 0x0
	s_cbranch_execz .LBB36_7
	s_branch .LBB36_8
.LBB36_4:
	s_load_dword s3, s[8:9], 0x0
	s_load_dwordx2 s[0:1], s[4:5], 0x50
	s_cbranch_execnz .LBB36_2
.LBB36_5:
	s_waitcnt lgkmcnt(0)
	s_mov_b32 s3, s8
	s_and_b32 vcc_lo, exec_lo, s7
	s_cbranch_vccnz .LBB36_3
.LBB36_6:
	s_waitcnt lgkmcnt(0)
                                        ; implicit-def: $sgpr18
.LBB36_7:
	s_waitcnt lgkmcnt(0)
	s_mov_b32 s18, s0
.LBB36_8:
	s_cmp_lg_u32 s3, 0
	s_cselect_b32 s0, -1, 0
	s_waitcnt lgkmcnt(0)
	s_cmp_lg_u32 s18, 1
	s_cselect_b32 s1, -1, 0
	s_or_b32 s0, s0, s1
	s_andn2_b32 vcc_lo, exec_lo, s0
	s_cbranch_vccnz .LBB36_30
; %bb.9:
	s_load_dwordx2 s[0:1], s[4:5], 0x18
	s_waitcnt lgkmcnt(0)
	s_cmp_eq_u64 s[0:1], 0
	s_cbranch_scc1 .LBB36_11
; %bb.10:
	s_ashr_i32 s7, s6, 31
	s_lshl_b64 s[6:7], s[6:7], 2
	s_add_u32 s0, s0, s6
	s_addc_u32 s1, s1, s7
	s_load_dword s0, s[0:1], 0x0
	s_waitcnt lgkmcnt(0)
	s_sub_i32 s6, s0, s2
.LBB36_11:
	s_load_dword s19, s[4:5], 0x40
	v_lshrrev_b32_e32 v1, 3, v0
	s_mov_b32 s0, exec_lo
	s_waitcnt lgkmcnt(0)
	v_cmpx_gt_i32_e64 s19, v1
	s_cbranch_execz .LBB36_30
; %bb.12:
	s_load_dwordx8 s[8:15], s[4:5], 0x20
	s_ashr_i32 s7, s6, 31
	v_and_b32_e32 v3, 7, v0
	s_lshl_b64 s[0:1], s[6:7], 2
	v_mbcnt_lo_u32_b32 v0, -1, 0
	v_mul_lo_u32 v11, s19, v1
	v_mov_b32_e32 v4, 0
	v_mul_lo_u32 v12, s19, v3
	s_mov_b32 s7, 0
	v_xor_b32_e32 v2, 4, v0
	v_xor_b32_e32 v5, 2, v0
	;; [unrolled: 1-line block ×3, first 2 shown]
	s_mul_i32 s6, s6, s19
	v_cmp_gt_i32_e32 vcc_lo, 32, v2
	v_cndmask_b32_e32 v2, v0, v2, vcc_lo
	s_waitcnt lgkmcnt(0)
	s_add_u32 s22, s8, s0
	s_addc_u32 s23, s9, s1
	v_cmp_gt_i32_e32 vcc_lo, 32, v5
	s_load_dword s24, s[22:23], 0x0
	s_clause 0x2
	s_load_dwordx2 s[8:9], s[4:5], 0x58
	s_load_dwordx2 s[16:17], s[4:5], 0x48
	s_load_dword s4, s[4:5], 0x0
	v_lshlrev_b32_e32 v13, 2, v2
	v_cndmask_b32_e32 v5, v0, v5, vcc_lo
	v_cmp_gt_i32_e32 vcc_lo, 32, v6
	v_lshlrev_b32_e32 v14, 2, v5
	v_cndmask_b32_e32 v0, v0, v6, vcc_lo
	v_lshlrev_b32_e32 v15, 2, v0
	s_waitcnt lgkmcnt(0)
	s_sub_i32 s20, s24, s2
	s_add_u32 s5, s22, 4
	s_addc_u32 s21, s23, 0
	s_add_u32 s0, s10, s0
	s_addc_u32 s1, s11, s1
	s_cmp_eq_u64 s[10:11], 0
	s_mul_hi_u32 s10, s19, s19
	s_cselect_b32 s1, s21, s1
	s_cselect_b32 s0, s5, s0
	s_mul_i32 s11, s19, s19
	s_load_dword s5, s[0:1], 0x0
	v_cmp_gt_u32_e64 s0, s19, v3
	v_cmp_eq_u32_e64 s1, 7, v3
	s_waitcnt lgkmcnt(0)
	s_sub_i32 s21, s5, s2
	s_cmp_lt_i32 s24, s5
	s_mul_i32 s5, s20, s10
	s_cselect_b32 s22, -1, 0
	s_cmp_lg_u32 s4, 0
	s_mul_hi_u32 s4, s20, s11
	s_cselect_b32 s23, -1, 0
	s_cmp_lg_u32 s18, 0
	s_cselect_b32 s24, -1, 0
	s_ashr_i32 s25, s20, 31
	s_add_i32 s4, s4, s5
	s_mul_i32 s5, s25, s11
	s_mul_i32 s25, s20, s11
	s_add_i32 s26, s4, s5
	s_lshl_b32 s27, s19, 3
	s_branch .LBB36_14
.LBB36_13:                              ;   in Loop: Header=BB36_14 Depth=1
	s_or_b32 exec_lo, exec_lo, s4
	v_add_nc_u32_e32 v1, 8, v1
	v_add_nc_u32_e32 v11, s27, v11
	v_cmp_le_i32_e32 vcc_lo, s19, v1
	s_or_b32 s7, vcc_lo, s7
	s_andn2_b32 exec_lo, exec_lo, s7
	s_cbranch_execz .LBB36_30
.LBB36_14:                              ; =>This Loop Header: Depth=1
                                        ;     Child Loop BB36_18 Depth 2
                                        ;       Child Loop BB36_21 Depth 3
	v_mov_b32_e32 v0, 0
	s_andn2_b32 vcc_lo, exec_lo, s22
	s_cbranch_vccnz .LBB36_25
; %bb.15:                               ;   in Loop: Header=BB36_14 Depth=1
	v_ashrrev_i32_e32 v0, 31, v11
	v_add_co_u32 v16, vcc_lo, s25, v11
	s_waitcnt lgkmcnt(0)
	v_ashrrev_i32_e32 v2, 31, v1
	s_mov_b32 s4, s20
	v_add_co_ci_u32_e64 v17, null, s26, v0, vcc_lo
	v_mov_b32_e32 v0, 0
	s_branch .LBB36_18
.LBB36_16:                              ;   in Loop: Header=BB36_18 Depth=2
	s_inst_prefetch 0x2
	s_or_b32 exec_lo, exec_lo, s5
.LBB36_17:                              ;   in Loop: Header=BB36_18 Depth=2
	s_or_b32 exec_lo, exec_lo, s28
	v_add_co_u32 v16, vcc_lo, v16, s11
	v_add_co_ci_u32_e64 v17, null, s10, v17, vcc_lo
	s_add_i32 s4, s4, 1
	s_cmp_ge_i32 s4, s21
	s_cbranch_scc1 .LBB36_25
.LBB36_18:                              ;   Parent Loop BB36_14 Depth=1
                                        ; =>  This Loop Header: Depth=2
                                        ;       Child Loop BB36_21 Depth 3
	s_and_saveexec_b32 s28, s0
	s_cbranch_execz .LBB36_17
; %bb.19:                               ;   in Loop: Header=BB36_18 Depth=2
	s_ashr_i32 s5, s4, 31
	v_mad_u64_u32 v[5:6], null, s11, s4, v[1:2]
	s_lshl_b64 s[30:31], s[4:5], 2
	s_mul_i32 s5, s11, s5
	s_add_u32 s30, s12, s30
	s_addc_u32 s31, s13, s31
	v_mov_b32_e32 v8, v4
	s_load_dword s29, s[30:31], 0x0
	s_mul_i32 s30, s10, s4
	v_mov_b32_e32 v18, v12
	v_mov_b32_e32 v7, v3
	v_add3_u32 v6, s5, s30, v6
	s_waitcnt lgkmcnt(0)
	s_sub_i32 s5, s29, s2
	s_mul_i32 s29, s5, s19
	s_mov_b32 s5, 0
	s_inst_prefetch 0x1
	s_branch .LBB36_21
	.p2align	6
.LBB36_20:                              ;   in Loop: Header=BB36_21 Depth=3
	v_add_nc_u32_e32 v19, s29, v7
	v_add_co_u32 v9, vcc_lo, s14, v9
	v_add_co_ci_u32_e64 v10, null, s15, v10, vcc_lo
	v_ashrrev_i32_e32 v20, 31, v19
	v_add_co_u32 v19, vcc_lo, s16, v19
	v_add_nc_u32_e32 v18, s27, v18
	v_add_co_ci_u32_e64 v20, null, s17, v20, vcc_lo
	v_add_co_u32 v7, vcc_lo, v7, 8
	global_load_sbyte v9, v[9:10], off
	global_load_sbyte v10, v[19:20], off
	v_add_co_ci_u32_e64 v8, null, 0, v8, vcc_lo
	v_cmp_le_i32_e32 vcc_lo, s19, v7
	s_or_b32 s5, vcc_lo, s5
	s_waitcnt vmcnt(0)
	v_mad_i32_i24 v0, v10, v9, v0
	s_andn2_b32 exec_lo, exec_lo, s5
	s_cbranch_execz .LBB36_16
.LBB36_21:                              ;   Parent Loop BB36_14 Depth=1
                                        ;     Parent Loop BB36_18 Depth=2
                                        ; =>    This Inner Loop Header: Depth=3
	s_and_b32 vcc_lo, exec_lo, s23
	s_cbranch_vccz .LBB36_23
; %bb.22:                               ;   in Loop: Header=BB36_21 Depth=3
	v_ashrrev_i32_e32 v10, 31, v18
	v_add_co_u32 v9, vcc_lo, v5, v18
	v_add_co_ci_u32_e64 v10, null, v6, v10, vcc_lo
	s_cbranch_execnz .LBB36_20
	s_branch .LBB36_24
.LBB36_23:                              ;   in Loop: Header=BB36_21 Depth=3
                                        ; implicit-def: $vgpr9_vgpr10
.LBB36_24:                              ;   in Loop: Header=BB36_21 Depth=3
	v_add_co_u32 v9, vcc_lo, v16, v7
	v_add_co_ci_u32_e64 v10, null, v17, v8, vcc_lo
	s_branch .LBB36_20
.LBB36_25:                              ;   in Loop: Header=BB36_14 Depth=1
	s_waitcnt lgkmcnt(0)
	ds_bpermute_b32 v2, v13, v0
	s_waitcnt lgkmcnt(0)
	v_add_nc_u32_e32 v0, v2, v0
	ds_bpermute_b32 v2, v14, v0
	s_waitcnt lgkmcnt(0)
	v_add_nc_u32_e32 v0, v2, v0
	ds_bpermute_b32 v2, v15, v0
	s_and_saveexec_b32 s4, s1
	s_cbranch_execz .LBB36_13
; %bb.26:                               ;   in Loop: Header=BB36_14 Depth=1
	s_waitcnt lgkmcnt(0)
	v_add_nc_u32_e32 v0, v2, v0
	v_add_nc_u32_e32 v5, s6, v1
	s_andn2_b32 vcc_lo, exec_lo, s24
	v_mul_lo_u32 v0, v0, s3
	v_ashrrev_i32_e32 v6, 31, v5
	s_cbranch_vccnz .LBB36_28
; %bb.27:                               ;   in Loop: Header=BB36_14 Depth=1
	v_lshlrev_b64 v[7:8], 2, v[5:6]
	v_add_co_u32 v7, vcc_lo, s8, v7
	v_add_co_ci_u32_e64 v8, null, s9, v8, vcc_lo
	global_load_dword v2, v[7:8], off
	s_waitcnt vmcnt(0)
	v_mad_u64_u32 v[9:10], null, v2, s18, v[0:1]
	global_store_dword v[7:8], v9, off
	s_cbranch_execnz .LBB36_13
	s_branch .LBB36_29
.LBB36_28:                              ;   in Loop: Header=BB36_14 Depth=1
.LBB36_29:                              ;   in Loop: Header=BB36_14 Depth=1
	v_lshlrev_b64 v[5:6], 2, v[5:6]
	v_add_co_u32 v5, vcc_lo, s8, v5
	v_add_co_ci_u32_e64 v6, null, s9, v6, vcc_lo
	global_store_dword v[5:6], v0, off
	s_branch .LBB36_13
.LBB36_30:
	s_endpgm
	.section	.rodata,"a",@progbits
	.p2align	6, 0x0
	.amdhsa_kernel _ZN9rocsparseL22bsrxmvn_general_kernelILj64ELj8EiiiaaiEEv20rocsparse_direction_NS_24const_host_device_scalarIT1_EET3_PKS5_PKT2_SA_S7_PKT4_S5_PKT5_S4_PT6_21rocsparse_index_base_b
		.amdhsa_group_segment_fixed_size 0
		.amdhsa_private_segment_fixed_size 0
		.amdhsa_kernarg_size 104
		.amdhsa_user_sgpr_count 6
		.amdhsa_user_sgpr_private_segment_buffer 1
		.amdhsa_user_sgpr_dispatch_ptr 0
		.amdhsa_user_sgpr_queue_ptr 0
		.amdhsa_user_sgpr_kernarg_segment_ptr 1
		.amdhsa_user_sgpr_dispatch_id 0
		.amdhsa_user_sgpr_flat_scratch_init 0
		.amdhsa_user_sgpr_private_segment_size 0
		.amdhsa_wavefront_size32 1
		.amdhsa_uses_dynamic_stack 0
		.amdhsa_system_sgpr_private_segment_wavefront_offset 0
		.amdhsa_system_sgpr_workgroup_id_x 1
		.amdhsa_system_sgpr_workgroup_id_y 0
		.amdhsa_system_sgpr_workgroup_id_z 0
		.amdhsa_system_sgpr_workgroup_info 0
		.amdhsa_system_vgpr_workitem_id 0
		.amdhsa_next_free_vgpr 21
		.amdhsa_next_free_sgpr 32
		.amdhsa_reserve_vcc 1
		.amdhsa_reserve_flat_scratch 0
		.amdhsa_float_round_mode_32 0
		.amdhsa_float_round_mode_16_64 0
		.amdhsa_float_denorm_mode_32 3
		.amdhsa_float_denorm_mode_16_64 3
		.amdhsa_dx10_clamp 1
		.amdhsa_ieee_mode 1
		.amdhsa_fp16_overflow 0
		.amdhsa_workgroup_processor_mode 1
		.amdhsa_memory_ordered 1
		.amdhsa_forward_progress 1
		.amdhsa_shared_vgpr_count 0
		.amdhsa_exception_fp_ieee_invalid_op 0
		.amdhsa_exception_fp_denorm_src 0
		.amdhsa_exception_fp_ieee_div_zero 0
		.amdhsa_exception_fp_ieee_overflow 0
		.amdhsa_exception_fp_ieee_underflow 0
		.amdhsa_exception_fp_ieee_inexact 0
		.amdhsa_exception_int_div_zero 0
	.end_amdhsa_kernel
	.section	.text._ZN9rocsparseL22bsrxmvn_general_kernelILj64ELj8EiiiaaiEEv20rocsparse_direction_NS_24const_host_device_scalarIT1_EET3_PKS5_PKT2_SA_S7_PKT4_S5_PKT5_S4_PT6_21rocsparse_index_base_b,"axG",@progbits,_ZN9rocsparseL22bsrxmvn_general_kernelILj64ELj8EiiiaaiEEv20rocsparse_direction_NS_24const_host_device_scalarIT1_EET3_PKS5_PKT2_SA_S7_PKT4_S5_PKT5_S4_PT6_21rocsparse_index_base_b,comdat
.Lfunc_end36:
	.size	_ZN9rocsparseL22bsrxmvn_general_kernelILj64ELj8EiiiaaiEEv20rocsparse_direction_NS_24const_host_device_scalarIT1_EET3_PKS5_PKT2_SA_S7_PKT4_S5_PKT5_S4_PT6_21rocsparse_index_base_b, .Lfunc_end36-_ZN9rocsparseL22bsrxmvn_general_kernelILj64ELj8EiiiaaiEEv20rocsparse_direction_NS_24const_host_device_scalarIT1_EET3_PKS5_PKT2_SA_S7_PKT4_S5_PKT5_S4_PT6_21rocsparse_index_base_b
                                        ; -- End function
	.set _ZN9rocsparseL22bsrxmvn_general_kernelILj64ELj8EiiiaaiEEv20rocsparse_direction_NS_24const_host_device_scalarIT1_EET3_PKS5_PKT2_SA_S7_PKT4_S5_PKT5_S4_PT6_21rocsparse_index_base_b.num_vgpr, 21
	.set _ZN9rocsparseL22bsrxmvn_general_kernelILj64ELj8EiiiaaiEEv20rocsparse_direction_NS_24const_host_device_scalarIT1_EET3_PKS5_PKT2_SA_S7_PKT4_S5_PKT5_S4_PT6_21rocsparse_index_base_b.num_agpr, 0
	.set _ZN9rocsparseL22bsrxmvn_general_kernelILj64ELj8EiiiaaiEEv20rocsparse_direction_NS_24const_host_device_scalarIT1_EET3_PKS5_PKT2_SA_S7_PKT4_S5_PKT5_S4_PT6_21rocsparse_index_base_b.numbered_sgpr, 32
	.set _ZN9rocsparseL22bsrxmvn_general_kernelILj64ELj8EiiiaaiEEv20rocsparse_direction_NS_24const_host_device_scalarIT1_EET3_PKS5_PKT2_SA_S7_PKT4_S5_PKT5_S4_PT6_21rocsparse_index_base_b.num_named_barrier, 0
	.set _ZN9rocsparseL22bsrxmvn_general_kernelILj64ELj8EiiiaaiEEv20rocsparse_direction_NS_24const_host_device_scalarIT1_EET3_PKS5_PKT2_SA_S7_PKT4_S5_PKT5_S4_PT6_21rocsparse_index_base_b.private_seg_size, 0
	.set _ZN9rocsparseL22bsrxmvn_general_kernelILj64ELj8EiiiaaiEEv20rocsparse_direction_NS_24const_host_device_scalarIT1_EET3_PKS5_PKT2_SA_S7_PKT4_S5_PKT5_S4_PT6_21rocsparse_index_base_b.uses_vcc, 1
	.set _ZN9rocsparseL22bsrxmvn_general_kernelILj64ELj8EiiiaaiEEv20rocsparse_direction_NS_24const_host_device_scalarIT1_EET3_PKS5_PKT2_SA_S7_PKT4_S5_PKT5_S4_PT6_21rocsparse_index_base_b.uses_flat_scratch, 0
	.set _ZN9rocsparseL22bsrxmvn_general_kernelILj64ELj8EiiiaaiEEv20rocsparse_direction_NS_24const_host_device_scalarIT1_EET3_PKS5_PKT2_SA_S7_PKT4_S5_PKT5_S4_PT6_21rocsparse_index_base_b.has_dyn_sized_stack, 0
	.set _ZN9rocsparseL22bsrxmvn_general_kernelILj64ELj8EiiiaaiEEv20rocsparse_direction_NS_24const_host_device_scalarIT1_EET3_PKS5_PKT2_SA_S7_PKT4_S5_PKT5_S4_PT6_21rocsparse_index_base_b.has_recursion, 0
	.set _ZN9rocsparseL22bsrxmvn_general_kernelILj64ELj8EiiiaaiEEv20rocsparse_direction_NS_24const_host_device_scalarIT1_EET3_PKS5_PKT2_SA_S7_PKT4_S5_PKT5_S4_PT6_21rocsparse_index_base_b.has_indirect_call, 0
	.section	.AMDGPU.csdata,"",@progbits
; Kernel info:
; codeLenInByte = 1112
; TotalNumSgprs: 34
; NumVgprs: 21
; ScratchSize: 0
; MemoryBound: 0
; FloatMode: 240
; IeeeMode: 1
; LDSByteSize: 0 bytes/workgroup (compile time only)
; SGPRBlocks: 0
; VGPRBlocks: 2
; NumSGPRsForWavesPerEU: 34
; NumVGPRsForWavesPerEU: 21
; Occupancy: 16
; WaveLimiterHint : 1
; COMPUTE_PGM_RSRC2:SCRATCH_EN: 0
; COMPUTE_PGM_RSRC2:USER_SGPR: 6
; COMPUTE_PGM_RSRC2:TRAP_HANDLER: 0
; COMPUTE_PGM_RSRC2:TGID_X_EN: 1
; COMPUTE_PGM_RSRC2:TGID_Y_EN: 0
; COMPUTE_PGM_RSRC2:TGID_Z_EN: 0
; COMPUTE_PGM_RSRC2:TIDIG_COMP_CNT: 0
	.section	.text._ZN9rocsparseL22bsrxmvn_general_kernelILj256ELj16EiiiaaiEEv20rocsparse_direction_NS_24const_host_device_scalarIT1_EET3_PKS5_PKT2_SA_S7_PKT4_S5_PKT5_S4_PT6_21rocsparse_index_base_b,"axG",@progbits,_ZN9rocsparseL22bsrxmvn_general_kernelILj256ELj16EiiiaaiEEv20rocsparse_direction_NS_24const_host_device_scalarIT1_EET3_PKS5_PKT2_SA_S7_PKT4_S5_PKT5_S4_PT6_21rocsparse_index_base_b,comdat
	.globl	_ZN9rocsparseL22bsrxmvn_general_kernelILj256ELj16EiiiaaiEEv20rocsparse_direction_NS_24const_host_device_scalarIT1_EET3_PKS5_PKT2_SA_S7_PKT4_S5_PKT5_S4_PT6_21rocsparse_index_base_b ; -- Begin function _ZN9rocsparseL22bsrxmvn_general_kernelILj256ELj16EiiiaaiEEv20rocsparse_direction_NS_24const_host_device_scalarIT1_EET3_PKS5_PKT2_SA_S7_PKT4_S5_PKT5_S4_PT6_21rocsparse_index_base_b
	.p2align	8
	.type	_ZN9rocsparseL22bsrxmvn_general_kernelILj256ELj16EiiiaaiEEv20rocsparse_direction_NS_24const_host_device_scalarIT1_EET3_PKS5_PKT2_SA_S7_PKT4_S5_PKT5_S4_PT6_21rocsparse_index_base_b,@function
_ZN9rocsparseL22bsrxmvn_general_kernelILj256ELj16EiiiaaiEEv20rocsparse_direction_NS_24const_host_device_scalarIT1_EET3_PKS5_PKT2_SA_S7_PKT4_S5_PKT5_S4_PT6_21rocsparse_index_base_b: ; @_ZN9rocsparseL22bsrxmvn_general_kernelILj256ELj16EiiiaaiEEv20rocsparse_direction_NS_24const_host_device_scalarIT1_EET3_PKS5_PKT2_SA_S7_PKT4_S5_PKT5_S4_PT6_21rocsparse_index_base_b
; %bb.0:
	s_clause 0x1
	s_load_dwordx2 s[2:3], s[4:5], 0x60
	s_load_dwordx2 s[8:9], s[4:5], 0x8
	s_mov_b32 s10, -1
	s_waitcnt lgkmcnt(0)
	s_bitcmp1_b32 s3, 0
                                        ; implicit-def: $sgpr3
	s_cselect_b32 s0, -1, 0
	s_xor_b32 s7, s0, -1
	s_and_b32 vcc_lo, exec_lo, s7
	s_cbranch_vccnz .LBB37_4
; %bb.1:
	s_load_dwordx2 s[0:1], s[4:5], 0x50
	s_andn2_b32 vcc_lo, exec_lo, s10
	s_cbranch_vccz .LBB37_5
.LBB37_2:
	s_and_b32 vcc_lo, exec_lo, s7
	s_cbranch_vccz .LBB37_6
.LBB37_3:
	s_waitcnt lgkmcnt(0)
	s_load_dword s18, s[0:1], 0x0
	s_cbranch_execz .LBB37_7
	s_branch .LBB37_8
.LBB37_4:
	s_load_dword s3, s[8:9], 0x0
	s_load_dwordx2 s[0:1], s[4:5], 0x50
	s_cbranch_execnz .LBB37_2
.LBB37_5:
	s_waitcnt lgkmcnt(0)
	s_mov_b32 s3, s8
	s_and_b32 vcc_lo, exec_lo, s7
	s_cbranch_vccnz .LBB37_3
.LBB37_6:
	s_waitcnt lgkmcnt(0)
                                        ; implicit-def: $sgpr18
.LBB37_7:
	s_waitcnt lgkmcnt(0)
	s_mov_b32 s18, s0
.LBB37_8:
	s_cmp_lg_u32 s3, 0
	s_cselect_b32 s0, -1, 0
	s_waitcnt lgkmcnt(0)
	s_cmp_lg_u32 s18, 1
	s_cselect_b32 s1, -1, 0
	s_or_b32 s0, s0, s1
	s_andn2_b32 vcc_lo, exec_lo, s0
	s_cbranch_vccnz .LBB37_30
; %bb.9:
	s_load_dwordx2 s[0:1], s[4:5], 0x18
	s_waitcnt lgkmcnt(0)
	s_cmp_eq_u64 s[0:1], 0
	s_cbranch_scc1 .LBB37_11
; %bb.10:
	s_ashr_i32 s7, s6, 31
	s_lshl_b64 s[6:7], s[6:7], 2
	s_add_u32 s0, s0, s6
	s_addc_u32 s1, s1, s7
	s_load_dword s0, s[0:1], 0x0
	s_waitcnt lgkmcnt(0)
	s_sub_i32 s6, s0, s2
.LBB37_11:
	s_load_dword s19, s[4:5], 0x40
	v_lshrrev_b32_e32 v1, 4, v0
	s_mov_b32 s0, exec_lo
	s_waitcnt lgkmcnt(0)
	v_cmpx_gt_i32_e64 s19, v1
	s_cbranch_execz .LBB37_30
; %bb.12:
	s_load_dwordx8 s[8:15], s[4:5], 0x20
	s_ashr_i32 s7, s6, 31
	v_and_b32_e32 v3, 15, v0
	s_lshl_b64 s[0:1], s[6:7], 2
	v_mbcnt_lo_u32_b32 v0, -1, 0
	s_mul_hi_u32 s20, s19, s19
	s_mul_i32 s21, s19, s19
	v_mul_lo_u32 v11, s19, v1
	v_mul_lo_u32 v12, s19, v3
	v_xor_b32_e32 v2, 8, v0
	v_xor_b32_e32 v5, 4, v0
	;; [unrolled: 1-line block ×4, first 2 shown]
	v_mov_b32_e32 v4, 0
	v_cmp_gt_i32_e32 vcc_lo, 32, v2
	s_mov_b32 s7, 0
	s_mul_i32 s6, s6, s19
	v_cndmask_b32_e32 v2, v0, v2, vcc_lo
	s_waitcnt lgkmcnt(0)
	s_add_u32 s24, s8, s0
	s_addc_u32 s25, s9, s1
	v_cmp_gt_i32_e32 vcc_lo, 32, v5
	s_load_dword s23, s[24:25], 0x0
	s_clause 0x2
	s_load_dwordx2 s[8:9], s[4:5], 0x58
	s_load_dwordx2 s[16:17], s[4:5], 0x48
	s_load_dword s4, s[4:5], 0x0
	v_lshlrev_b32_e32 v13, 2, v2
	v_cndmask_b32_e32 v5, v0, v5, vcc_lo
	v_cmp_gt_i32_e32 vcc_lo, 32, v6
	v_lshlrev_b32_e32 v14, 2, v5
	v_cndmask_b32_e32 v6, v0, v6, vcc_lo
	v_cmp_gt_i32_e32 vcc_lo, 32, v7
	v_lshlrev_b32_e32 v15, 2, v6
	v_cndmask_b32_e32 v0, v0, v7, vcc_lo
	s_waitcnt lgkmcnt(0)
	s_sub_i32 s22, s23, s2
	s_add_u32 s5, s24, 4
	s_addc_u32 s24, s25, 0
	s_add_u32 s0, s10, s0
	s_addc_u32 s1, s11, s1
	s_cmp_eq_u64 s[10:11], 0
	v_lshlrev_b32_e32 v16, 2, v0
	s_cselect_b32 s1, s24, s1
	s_cselect_b32 s0, s5, s0
	s_load_dword s5, s[0:1], 0x0
	v_cmp_gt_u32_e64 s0, s19, v3
	v_cmp_eq_u32_e64 s1, 15, v3
	s_waitcnt lgkmcnt(0)
	s_sub_i32 s10, s5, s2
	s_cmp_lt_i32 s23, s5
	s_mul_i32 s5, s22, s20
	s_cselect_b32 s11, -1, 0
	s_cmp_lg_u32 s4, 0
	s_mul_hi_u32 s4, s22, s21
	s_cselect_b32 s23, -1, 0
	s_cmp_lg_u32 s18, 0
	s_cselect_b32 s24, -1, 0
	s_ashr_i32 s25, s22, 31
	s_add_i32 s4, s4, s5
	s_mul_i32 s5, s25, s21
	s_mul_i32 s25, s22, s21
	s_add_i32 s26, s4, s5
	s_lshl_b32 s27, s19, 4
	s_branch .LBB37_14
.LBB37_13:                              ;   in Loop: Header=BB37_14 Depth=1
	s_or_b32 exec_lo, exec_lo, s4
	v_add_nc_u32_e32 v1, 16, v1
	v_add_nc_u32_e32 v11, s27, v11
	v_cmp_le_i32_e32 vcc_lo, s19, v1
	s_or_b32 s7, vcc_lo, s7
	s_andn2_b32 exec_lo, exec_lo, s7
	s_cbranch_execz .LBB37_30
.LBB37_14:                              ; =>This Loop Header: Depth=1
                                        ;     Child Loop BB37_18 Depth 2
                                        ;       Child Loop BB37_21 Depth 3
	v_mov_b32_e32 v0, 0
	s_andn2_b32 vcc_lo, exec_lo, s11
	s_cbranch_vccnz .LBB37_25
; %bb.15:                               ;   in Loop: Header=BB37_14 Depth=1
	v_ashrrev_i32_e32 v0, 31, v11
	v_add_co_u32 v17, vcc_lo, s25, v11
	s_waitcnt lgkmcnt(0)
	v_ashrrev_i32_e32 v2, 31, v1
	s_mov_b32 s4, s22
	v_add_co_ci_u32_e64 v18, null, s26, v0, vcc_lo
	v_mov_b32_e32 v0, 0
	s_branch .LBB37_18
.LBB37_16:                              ;   in Loop: Header=BB37_18 Depth=2
	s_inst_prefetch 0x2
	s_or_b32 exec_lo, exec_lo, s5
.LBB37_17:                              ;   in Loop: Header=BB37_18 Depth=2
	s_or_b32 exec_lo, exec_lo, s28
	v_add_co_u32 v17, vcc_lo, v17, s21
	v_add_co_ci_u32_e64 v18, null, s20, v18, vcc_lo
	s_add_i32 s4, s4, 1
	s_cmp_ge_i32 s4, s10
	s_cbranch_scc1 .LBB37_25
.LBB37_18:                              ;   Parent Loop BB37_14 Depth=1
                                        ; =>  This Loop Header: Depth=2
                                        ;       Child Loop BB37_21 Depth 3
	s_and_saveexec_b32 s28, s0
	s_cbranch_execz .LBB37_17
; %bb.19:                               ;   in Loop: Header=BB37_18 Depth=2
	s_ashr_i32 s5, s4, 31
	v_mad_u64_u32 v[5:6], null, s21, s4, v[1:2]
	s_lshl_b64 s[30:31], s[4:5], 2
	s_mul_i32 s5, s21, s5
	s_add_u32 s30, s12, s30
	s_addc_u32 s31, s13, s31
	v_mov_b32_e32 v8, v4
	s_load_dword s29, s[30:31], 0x0
	s_mul_i32 s30, s20, s4
	v_mov_b32_e32 v19, v12
	v_mov_b32_e32 v7, v3
	v_add3_u32 v6, s5, s30, v6
	s_waitcnt lgkmcnt(0)
	s_sub_i32 s5, s29, s2
	s_mul_i32 s29, s5, s19
	s_mov_b32 s5, 0
	s_inst_prefetch 0x1
	s_branch .LBB37_21
	.p2align	6
.LBB37_20:                              ;   in Loop: Header=BB37_21 Depth=3
	v_add_nc_u32_e32 v20, s29, v7
	v_add_co_u32 v9, vcc_lo, s14, v9
	v_add_co_ci_u32_e64 v10, null, s15, v10, vcc_lo
	v_ashrrev_i32_e32 v21, 31, v20
	v_add_co_u32 v20, vcc_lo, s16, v20
	v_add_nc_u32_e32 v19, s27, v19
	v_add_co_ci_u32_e64 v21, null, s17, v21, vcc_lo
	v_add_co_u32 v7, vcc_lo, v7, 16
	global_load_sbyte v9, v[9:10], off
	global_load_sbyte v10, v[20:21], off
	v_add_co_ci_u32_e64 v8, null, 0, v8, vcc_lo
	v_cmp_le_i32_e32 vcc_lo, s19, v7
	s_or_b32 s5, vcc_lo, s5
	s_waitcnt vmcnt(0)
	v_mad_i32_i24 v0, v10, v9, v0
	s_andn2_b32 exec_lo, exec_lo, s5
	s_cbranch_execz .LBB37_16
.LBB37_21:                              ;   Parent Loop BB37_14 Depth=1
                                        ;     Parent Loop BB37_18 Depth=2
                                        ; =>    This Inner Loop Header: Depth=3
	s_and_b32 vcc_lo, exec_lo, s23
	s_cbranch_vccz .LBB37_23
; %bb.22:                               ;   in Loop: Header=BB37_21 Depth=3
	v_ashrrev_i32_e32 v10, 31, v19
	v_add_co_u32 v9, vcc_lo, v5, v19
	v_add_co_ci_u32_e64 v10, null, v6, v10, vcc_lo
	s_cbranch_execnz .LBB37_20
	s_branch .LBB37_24
.LBB37_23:                              ;   in Loop: Header=BB37_21 Depth=3
                                        ; implicit-def: $vgpr9_vgpr10
.LBB37_24:                              ;   in Loop: Header=BB37_21 Depth=3
	v_add_co_u32 v9, vcc_lo, v17, v7
	v_add_co_ci_u32_e64 v10, null, v18, v8, vcc_lo
	s_branch .LBB37_20
.LBB37_25:                              ;   in Loop: Header=BB37_14 Depth=1
	s_waitcnt lgkmcnt(0)
	ds_bpermute_b32 v2, v13, v0
	s_waitcnt lgkmcnt(0)
	v_add_nc_u32_e32 v0, v2, v0
	ds_bpermute_b32 v2, v14, v0
	s_waitcnt lgkmcnt(0)
	v_add_nc_u32_e32 v0, v2, v0
	;; [unrolled: 3-line block ×3, first 2 shown]
	ds_bpermute_b32 v2, v16, v0
	s_and_saveexec_b32 s4, s1
	s_cbranch_execz .LBB37_13
; %bb.26:                               ;   in Loop: Header=BB37_14 Depth=1
	s_waitcnt lgkmcnt(0)
	v_add_nc_u32_e32 v0, v2, v0
	v_add_nc_u32_e32 v5, s6, v1
	s_andn2_b32 vcc_lo, exec_lo, s24
	v_mul_lo_u32 v0, v0, s3
	v_ashrrev_i32_e32 v6, 31, v5
	s_cbranch_vccnz .LBB37_28
; %bb.27:                               ;   in Loop: Header=BB37_14 Depth=1
	v_lshlrev_b64 v[7:8], 2, v[5:6]
	v_add_co_u32 v7, vcc_lo, s8, v7
	v_add_co_ci_u32_e64 v8, null, s9, v8, vcc_lo
	global_load_dword v2, v[7:8], off
	s_waitcnt vmcnt(0)
	v_mad_u64_u32 v[9:10], null, v2, s18, v[0:1]
	global_store_dword v[7:8], v9, off
	s_cbranch_execnz .LBB37_13
	s_branch .LBB37_29
.LBB37_28:                              ;   in Loop: Header=BB37_14 Depth=1
.LBB37_29:                              ;   in Loop: Header=BB37_14 Depth=1
	v_lshlrev_b64 v[5:6], 2, v[5:6]
	v_add_co_u32 v5, vcc_lo, s8, v5
	v_add_co_ci_u32_e64 v6, null, s9, v6, vcc_lo
	global_store_dword v[5:6], v0, off
	s_branch .LBB37_13
.LBB37_30:
	s_endpgm
	.section	.rodata,"a",@progbits
	.p2align	6, 0x0
	.amdhsa_kernel _ZN9rocsparseL22bsrxmvn_general_kernelILj256ELj16EiiiaaiEEv20rocsparse_direction_NS_24const_host_device_scalarIT1_EET3_PKS5_PKT2_SA_S7_PKT4_S5_PKT5_S4_PT6_21rocsparse_index_base_b
		.amdhsa_group_segment_fixed_size 0
		.amdhsa_private_segment_fixed_size 0
		.amdhsa_kernarg_size 104
		.amdhsa_user_sgpr_count 6
		.amdhsa_user_sgpr_private_segment_buffer 1
		.amdhsa_user_sgpr_dispatch_ptr 0
		.amdhsa_user_sgpr_queue_ptr 0
		.amdhsa_user_sgpr_kernarg_segment_ptr 1
		.amdhsa_user_sgpr_dispatch_id 0
		.amdhsa_user_sgpr_flat_scratch_init 0
		.amdhsa_user_sgpr_private_segment_size 0
		.amdhsa_wavefront_size32 1
		.amdhsa_uses_dynamic_stack 0
		.amdhsa_system_sgpr_private_segment_wavefront_offset 0
		.amdhsa_system_sgpr_workgroup_id_x 1
		.amdhsa_system_sgpr_workgroup_id_y 0
		.amdhsa_system_sgpr_workgroup_id_z 0
		.amdhsa_system_sgpr_workgroup_info 0
		.amdhsa_system_vgpr_workitem_id 0
		.amdhsa_next_free_vgpr 22
		.amdhsa_next_free_sgpr 32
		.amdhsa_reserve_vcc 1
		.amdhsa_reserve_flat_scratch 0
		.amdhsa_float_round_mode_32 0
		.amdhsa_float_round_mode_16_64 0
		.amdhsa_float_denorm_mode_32 3
		.amdhsa_float_denorm_mode_16_64 3
		.amdhsa_dx10_clamp 1
		.amdhsa_ieee_mode 1
		.amdhsa_fp16_overflow 0
		.amdhsa_workgroup_processor_mode 1
		.amdhsa_memory_ordered 1
		.amdhsa_forward_progress 1
		.amdhsa_shared_vgpr_count 0
		.amdhsa_exception_fp_ieee_invalid_op 0
		.amdhsa_exception_fp_denorm_src 0
		.amdhsa_exception_fp_ieee_div_zero 0
		.amdhsa_exception_fp_ieee_overflow 0
		.amdhsa_exception_fp_ieee_underflow 0
		.amdhsa_exception_fp_ieee_inexact 0
		.amdhsa_exception_int_div_zero 0
	.end_amdhsa_kernel
	.section	.text._ZN9rocsparseL22bsrxmvn_general_kernelILj256ELj16EiiiaaiEEv20rocsparse_direction_NS_24const_host_device_scalarIT1_EET3_PKS5_PKT2_SA_S7_PKT4_S5_PKT5_S4_PT6_21rocsparse_index_base_b,"axG",@progbits,_ZN9rocsparseL22bsrxmvn_general_kernelILj256ELj16EiiiaaiEEv20rocsparse_direction_NS_24const_host_device_scalarIT1_EET3_PKS5_PKT2_SA_S7_PKT4_S5_PKT5_S4_PT6_21rocsparse_index_base_b,comdat
.Lfunc_end37:
	.size	_ZN9rocsparseL22bsrxmvn_general_kernelILj256ELj16EiiiaaiEEv20rocsparse_direction_NS_24const_host_device_scalarIT1_EET3_PKS5_PKT2_SA_S7_PKT4_S5_PKT5_S4_PT6_21rocsparse_index_base_b, .Lfunc_end37-_ZN9rocsparseL22bsrxmvn_general_kernelILj256ELj16EiiiaaiEEv20rocsparse_direction_NS_24const_host_device_scalarIT1_EET3_PKS5_PKT2_SA_S7_PKT4_S5_PKT5_S4_PT6_21rocsparse_index_base_b
                                        ; -- End function
	.set _ZN9rocsparseL22bsrxmvn_general_kernelILj256ELj16EiiiaaiEEv20rocsparse_direction_NS_24const_host_device_scalarIT1_EET3_PKS5_PKT2_SA_S7_PKT4_S5_PKT5_S4_PT6_21rocsparse_index_base_b.num_vgpr, 22
	.set _ZN9rocsparseL22bsrxmvn_general_kernelILj256ELj16EiiiaaiEEv20rocsparse_direction_NS_24const_host_device_scalarIT1_EET3_PKS5_PKT2_SA_S7_PKT4_S5_PKT5_S4_PT6_21rocsparse_index_base_b.num_agpr, 0
	.set _ZN9rocsparseL22bsrxmvn_general_kernelILj256ELj16EiiiaaiEEv20rocsparse_direction_NS_24const_host_device_scalarIT1_EET3_PKS5_PKT2_SA_S7_PKT4_S5_PKT5_S4_PT6_21rocsparse_index_base_b.numbered_sgpr, 32
	.set _ZN9rocsparseL22bsrxmvn_general_kernelILj256ELj16EiiiaaiEEv20rocsparse_direction_NS_24const_host_device_scalarIT1_EET3_PKS5_PKT2_SA_S7_PKT4_S5_PKT5_S4_PT6_21rocsparse_index_base_b.num_named_barrier, 0
	.set _ZN9rocsparseL22bsrxmvn_general_kernelILj256ELj16EiiiaaiEEv20rocsparse_direction_NS_24const_host_device_scalarIT1_EET3_PKS5_PKT2_SA_S7_PKT4_S5_PKT5_S4_PT6_21rocsparse_index_base_b.private_seg_size, 0
	.set _ZN9rocsparseL22bsrxmvn_general_kernelILj256ELj16EiiiaaiEEv20rocsparse_direction_NS_24const_host_device_scalarIT1_EET3_PKS5_PKT2_SA_S7_PKT4_S5_PKT5_S4_PT6_21rocsparse_index_base_b.uses_vcc, 1
	.set _ZN9rocsparseL22bsrxmvn_general_kernelILj256ELj16EiiiaaiEEv20rocsparse_direction_NS_24const_host_device_scalarIT1_EET3_PKS5_PKT2_SA_S7_PKT4_S5_PKT5_S4_PT6_21rocsparse_index_base_b.uses_flat_scratch, 0
	.set _ZN9rocsparseL22bsrxmvn_general_kernelILj256ELj16EiiiaaiEEv20rocsparse_direction_NS_24const_host_device_scalarIT1_EET3_PKS5_PKT2_SA_S7_PKT4_S5_PKT5_S4_PT6_21rocsparse_index_base_b.has_dyn_sized_stack, 0
	.set _ZN9rocsparseL22bsrxmvn_general_kernelILj256ELj16EiiiaaiEEv20rocsparse_direction_NS_24const_host_device_scalarIT1_EET3_PKS5_PKT2_SA_S7_PKT4_S5_PKT5_S4_PT6_21rocsparse_index_base_b.has_recursion, 0
	.set _ZN9rocsparseL22bsrxmvn_general_kernelILj256ELj16EiiiaaiEEv20rocsparse_direction_NS_24const_host_device_scalarIT1_EET3_PKS5_PKT2_SA_S7_PKT4_S5_PKT5_S4_PT6_21rocsparse_index_base_b.has_indirect_call, 0
	.section	.AMDGPU.csdata,"",@progbits
; Kernel info:
; codeLenInByte = 1192
; TotalNumSgprs: 34
; NumVgprs: 22
; ScratchSize: 0
; MemoryBound: 0
; FloatMode: 240
; IeeeMode: 1
; LDSByteSize: 0 bytes/workgroup (compile time only)
; SGPRBlocks: 0
; VGPRBlocks: 2
; NumSGPRsForWavesPerEU: 34
; NumVGPRsForWavesPerEU: 22
; Occupancy: 16
; WaveLimiterHint : 1
; COMPUTE_PGM_RSRC2:SCRATCH_EN: 0
; COMPUTE_PGM_RSRC2:USER_SGPR: 6
; COMPUTE_PGM_RSRC2:TRAP_HANDLER: 0
; COMPUTE_PGM_RSRC2:TGID_X_EN: 1
; COMPUTE_PGM_RSRC2:TGID_Y_EN: 0
; COMPUTE_PGM_RSRC2:TGID_Z_EN: 0
; COMPUTE_PGM_RSRC2:TIDIG_COMP_CNT: 0
	.section	.text._ZN9rocsparseL22bsrxmvn_general_kernelILj1024ELj32EiiiaaiEEv20rocsparse_direction_NS_24const_host_device_scalarIT1_EET3_PKS5_PKT2_SA_S7_PKT4_S5_PKT5_S4_PT6_21rocsparse_index_base_b,"axG",@progbits,_ZN9rocsparseL22bsrxmvn_general_kernelILj1024ELj32EiiiaaiEEv20rocsparse_direction_NS_24const_host_device_scalarIT1_EET3_PKS5_PKT2_SA_S7_PKT4_S5_PKT5_S4_PT6_21rocsparse_index_base_b,comdat
	.globl	_ZN9rocsparseL22bsrxmvn_general_kernelILj1024ELj32EiiiaaiEEv20rocsparse_direction_NS_24const_host_device_scalarIT1_EET3_PKS5_PKT2_SA_S7_PKT4_S5_PKT5_S4_PT6_21rocsparse_index_base_b ; -- Begin function _ZN9rocsparseL22bsrxmvn_general_kernelILj1024ELj32EiiiaaiEEv20rocsparse_direction_NS_24const_host_device_scalarIT1_EET3_PKS5_PKT2_SA_S7_PKT4_S5_PKT5_S4_PT6_21rocsparse_index_base_b
	.p2align	8
	.type	_ZN9rocsparseL22bsrxmvn_general_kernelILj1024ELj32EiiiaaiEEv20rocsparse_direction_NS_24const_host_device_scalarIT1_EET3_PKS5_PKT2_SA_S7_PKT4_S5_PKT5_S4_PT6_21rocsparse_index_base_b,@function
_ZN9rocsparseL22bsrxmvn_general_kernelILj1024ELj32EiiiaaiEEv20rocsparse_direction_NS_24const_host_device_scalarIT1_EET3_PKS5_PKT2_SA_S7_PKT4_S5_PKT5_S4_PT6_21rocsparse_index_base_b: ; @_ZN9rocsparseL22bsrxmvn_general_kernelILj1024ELj32EiiiaaiEEv20rocsparse_direction_NS_24const_host_device_scalarIT1_EET3_PKS5_PKT2_SA_S7_PKT4_S5_PKT5_S4_PT6_21rocsparse_index_base_b
; %bb.0:
	s_clause 0x1
	s_load_dwordx2 s[2:3], s[4:5], 0x60
	s_load_dwordx2 s[8:9], s[4:5], 0x8
	s_mov_b32 s10, -1
	s_waitcnt lgkmcnt(0)
	s_bitcmp1_b32 s3, 0
                                        ; implicit-def: $sgpr3
	s_cselect_b32 s0, -1, 0
	s_xor_b32 s7, s0, -1
	s_and_b32 vcc_lo, exec_lo, s7
	s_cbranch_vccnz .LBB38_4
; %bb.1:
	s_load_dwordx2 s[0:1], s[4:5], 0x50
	s_andn2_b32 vcc_lo, exec_lo, s10
	s_cbranch_vccz .LBB38_5
.LBB38_2:
	s_and_b32 vcc_lo, exec_lo, s7
	s_cbranch_vccz .LBB38_6
.LBB38_3:
	s_waitcnt lgkmcnt(0)
	s_load_dword s18, s[0:1], 0x0
	s_cbranch_execz .LBB38_7
	s_branch .LBB38_8
.LBB38_4:
	s_load_dword s3, s[8:9], 0x0
	s_load_dwordx2 s[0:1], s[4:5], 0x50
	s_cbranch_execnz .LBB38_2
.LBB38_5:
	s_waitcnt lgkmcnt(0)
	s_mov_b32 s3, s8
	s_and_b32 vcc_lo, exec_lo, s7
	s_cbranch_vccnz .LBB38_3
.LBB38_6:
	s_waitcnt lgkmcnt(0)
                                        ; implicit-def: $sgpr18
.LBB38_7:
	s_waitcnt lgkmcnt(0)
	s_mov_b32 s18, s0
.LBB38_8:
	s_cmp_lg_u32 s3, 0
	s_cselect_b32 s0, -1, 0
	s_waitcnt lgkmcnt(0)
	s_cmp_lg_u32 s18, 1
	s_cselect_b32 s1, -1, 0
	s_or_b32 s0, s0, s1
	s_andn2_b32 vcc_lo, exec_lo, s0
	s_cbranch_vccnz .LBB38_30
; %bb.9:
	s_load_dwordx2 s[0:1], s[4:5], 0x18
	s_waitcnt lgkmcnt(0)
	s_cmp_eq_u64 s[0:1], 0
	s_cbranch_scc1 .LBB38_11
; %bb.10:
	s_ashr_i32 s7, s6, 31
	s_lshl_b64 s[6:7], s[6:7], 2
	s_add_u32 s0, s0, s6
	s_addc_u32 s1, s1, s7
	s_load_dword s0, s[0:1], 0x0
	s_waitcnt lgkmcnt(0)
	s_sub_i32 s6, s0, s2
.LBB38_11:
	s_load_dword s19, s[4:5], 0x40
	v_lshrrev_b32_e32 v1, 5, v0
	s_mov_b32 s0, exec_lo
	s_waitcnt lgkmcnt(0)
	v_cmpx_gt_i32_e64 s19, v1
	s_cbranch_execz .LBB38_30
; %bb.12:
	s_load_dwordx8 s[8:15], s[4:5], 0x20
	s_ashr_i32 s7, s6, 31
	v_and_b32_e32 v3, 31, v0
	s_lshl_b64 s[24:25], s[6:7], 2
	v_mbcnt_lo_u32_b32 v0, -1, 0
	s_load_dword s28, s[4:5], 0x0
	v_mov_b32_e32 v2, 0
	s_mul_hi_u32 s20, s19, s19
	s_mul_i32 s21, s19, s19
	v_xor_b32_e32 v5, 16, v0
	v_xor_b32_e32 v6, 8, v0
	;; [unrolled: 1-line block ×5, first 2 shown]
	v_cmp_gt_i32_e32 vcc_lo, 32, v5
	v_mul_lo_u32 v11, s19, v1
	v_mul_lo_u32 v12, s19, v3
	v_cmp_gt_u32_e64 s0, s19, v3
	v_mov_b32_e32 v4, v2
	v_cndmask_b32_e32 v5, v0, v5, vcc_lo
	s_waitcnt lgkmcnt(0)
	s_add_u32 s26, s8, s24
	s_addc_u32 s27, s9, s25
	v_cmp_gt_i32_e32 vcc_lo, 32, v6
	s_load_dword s23, s[26:27], 0x0
	s_clause 0x1
	s_load_dwordx2 s[8:9], s[4:5], 0x58
	s_load_dwordx2 s[16:17], s[4:5], 0x48
	v_lshlrev_b32_e32 v13, 2, v5
	s_mov_b32 s7, 0
	s_mul_i32 s6, s6, s19
	v_cndmask_b32_e32 v6, v0, v6, vcc_lo
	v_cmp_gt_i32_e32 vcc_lo, 32, v7
	v_lshlrev_b32_e32 v14, 2, v6
	v_cndmask_b32_e32 v7, v0, v7, vcc_lo
	v_cmp_gt_i32_e32 vcc_lo, 32, v8
	v_lshlrev_b32_e32 v15, 2, v7
	v_cndmask_b32_e32 v8, v0, v8, vcc_lo
	v_cmp_gt_i32_e32 vcc_lo, 32, v9
	s_waitcnt lgkmcnt(0)
	s_sub_i32 s22, s23, s2
	s_add_u32 s1, s26, 4
	s_addc_u32 s4, s27, 0
	s_add_u32 s24, s10, s24
	s_addc_u32 s5, s11, s25
	s_cmp_eq_u64 s[10:11], 0
	v_cndmask_b32_e32 v0, v0, v9, vcc_lo
	s_cselect_b32 s5, s4, s5
	s_cselect_b32 s4, s1, s24
	v_cmp_eq_u32_e64 s1, 31, v3
	s_load_dword s4, s[4:5], 0x0
	s_mul_hi_u32 s5, s22, s21
	v_lshlrev_b32_e32 v16, 2, v8
	v_lshlrev_b32_e32 v17, 2, v0
	s_waitcnt lgkmcnt(0)
	s_sub_i32 s10, s4, s2
	s_cmp_lt_i32 s23, s4
	s_mul_i32 s4, s22, s20
	s_cselect_b32 s11, -1, 0
	s_cmp_lg_u32 s28, 0
	s_cselect_b32 s23, -1, 0
	s_cmp_lg_u32 s18, 0
	s_cselect_b32 s24, -1, 0
	s_ashr_i32 s25, s22, 31
	s_add_i32 s4, s5, s4
	s_mul_i32 s5, s25, s21
	s_mul_i32 s25, s22, s21
	s_add_i32 s26, s4, s5
	s_lshl_b32 s27, s19, 5
	s_branch .LBB38_14
.LBB38_13:                              ;   in Loop: Header=BB38_14 Depth=1
	s_or_b32 exec_lo, exec_lo, s4
	v_add_nc_u32_e32 v1, 32, v1
	v_add_nc_u32_e32 v11, s27, v11
	v_cmp_le_i32_e32 vcc_lo, s19, v1
	s_or_b32 s7, vcc_lo, s7
	s_andn2_b32 exec_lo, exec_lo, s7
	s_cbranch_execz .LBB38_30
.LBB38_14:                              ; =>This Loop Header: Depth=1
                                        ;     Child Loop BB38_18 Depth 2
                                        ;       Child Loop BB38_21 Depth 3
	v_mov_b32_e32 v0, 0
	s_andn2_b32 vcc_lo, exec_lo, s11
	s_cbranch_vccnz .LBB38_25
; %bb.15:                               ;   in Loop: Header=BB38_14 Depth=1
	v_ashrrev_i32_e32 v0, 31, v11
	v_add_co_u32 v18, vcc_lo, s25, v11
	s_mov_b32 s4, s22
	v_add_co_ci_u32_e64 v19, null, s26, v0, vcc_lo
	v_mov_b32_e32 v0, 0
	s_branch .LBB38_18
.LBB38_16:                              ;   in Loop: Header=BB38_18 Depth=2
	s_inst_prefetch 0x2
	s_or_b32 exec_lo, exec_lo, s5
.LBB38_17:                              ;   in Loop: Header=BB38_18 Depth=2
	s_or_b32 exec_lo, exec_lo, s28
	v_add_co_u32 v18, vcc_lo, v18, s21
	v_add_co_ci_u32_e64 v19, null, s20, v19, vcc_lo
	s_add_i32 s4, s4, 1
	s_cmp_ge_i32 s4, s10
	s_cbranch_scc1 .LBB38_25
.LBB38_18:                              ;   Parent Loop BB38_14 Depth=1
                                        ; =>  This Loop Header: Depth=2
                                        ;       Child Loop BB38_21 Depth 3
	s_and_saveexec_b32 s28, s0
	s_cbranch_execz .LBB38_17
; %bb.19:                               ;   in Loop: Header=BB38_18 Depth=2
	s_ashr_i32 s5, s4, 31
	s_waitcnt lgkmcnt(0)
	v_mad_u64_u32 v[5:6], null, s21, s4, v[1:2]
	s_lshl_b64 s[30:31], s[4:5], 2
	s_mul_i32 s5, s21, s5
	s_add_u32 s30, s12, s30
	s_addc_u32 s31, s13, s31
	v_mov_b32_e32 v8, v4
	s_load_dword s29, s[30:31], 0x0
	s_mul_i32 s30, s20, s4
	v_mov_b32_e32 v20, v12
	v_mov_b32_e32 v7, v3
	v_add3_u32 v6, s5, s30, v6
	s_waitcnt lgkmcnt(0)
	s_sub_i32 s5, s29, s2
	s_mul_i32 s29, s5, s19
	s_mov_b32 s5, 0
	s_inst_prefetch 0x1
	s_branch .LBB38_21
	.p2align	6
.LBB38_20:                              ;   in Loop: Header=BB38_21 Depth=3
	v_add_nc_u32_e32 v21, s29, v7
	v_add_co_u32 v9, vcc_lo, s14, v9
	v_add_co_ci_u32_e64 v10, null, s15, v10, vcc_lo
	v_ashrrev_i32_e32 v22, 31, v21
	v_add_co_u32 v21, vcc_lo, s16, v21
	v_add_nc_u32_e32 v20, s27, v20
	v_add_co_ci_u32_e64 v22, null, s17, v22, vcc_lo
	v_add_co_u32 v7, vcc_lo, v7, 32
	global_load_sbyte v9, v[9:10], off
	global_load_sbyte v10, v[21:22], off
	v_add_co_ci_u32_e64 v8, null, 0, v8, vcc_lo
	v_cmp_le_i32_e32 vcc_lo, s19, v7
	s_or_b32 s5, vcc_lo, s5
	s_waitcnt vmcnt(0)
	v_mad_i32_i24 v0, v10, v9, v0
	s_andn2_b32 exec_lo, exec_lo, s5
	s_cbranch_execz .LBB38_16
.LBB38_21:                              ;   Parent Loop BB38_14 Depth=1
                                        ;     Parent Loop BB38_18 Depth=2
                                        ; =>    This Inner Loop Header: Depth=3
	s_and_b32 vcc_lo, exec_lo, s23
	s_cbranch_vccz .LBB38_23
; %bb.22:                               ;   in Loop: Header=BB38_21 Depth=3
	v_ashrrev_i32_e32 v10, 31, v20
	v_add_co_u32 v9, vcc_lo, v5, v20
	v_add_co_ci_u32_e64 v10, null, v6, v10, vcc_lo
	s_cbranch_execnz .LBB38_20
	s_branch .LBB38_24
.LBB38_23:                              ;   in Loop: Header=BB38_21 Depth=3
                                        ; implicit-def: $vgpr9_vgpr10
.LBB38_24:                              ;   in Loop: Header=BB38_21 Depth=3
	v_add_co_u32 v9, vcc_lo, v18, v7
	v_add_co_ci_u32_e64 v10, null, v19, v8, vcc_lo
	s_branch .LBB38_20
.LBB38_25:                              ;   in Loop: Header=BB38_14 Depth=1
	s_waitcnt lgkmcnt(0)
	ds_bpermute_b32 v5, v13, v0
	s_waitcnt lgkmcnt(0)
	v_add_nc_u32_e32 v0, v5, v0
	ds_bpermute_b32 v5, v14, v0
	s_waitcnt lgkmcnt(0)
	v_add_nc_u32_e32 v0, v5, v0
	;; [unrolled: 3-line block ×4, first 2 shown]
	ds_bpermute_b32 v5, v17, v0
	s_and_saveexec_b32 s4, s1
	s_cbranch_execz .LBB38_13
; %bb.26:                               ;   in Loop: Header=BB38_14 Depth=1
	s_waitcnt lgkmcnt(0)
	v_add_nc_u32_e32 v0, v5, v0
	v_add_nc_u32_e32 v5, s6, v1
	s_andn2_b32 vcc_lo, exec_lo, s24
	v_mul_lo_u32 v0, v0, s3
	v_ashrrev_i32_e32 v6, 31, v5
	s_cbranch_vccnz .LBB38_28
; %bb.27:                               ;   in Loop: Header=BB38_14 Depth=1
	v_lshlrev_b64 v[7:8], 2, v[5:6]
	v_add_co_u32 v7, vcc_lo, s8, v7
	v_add_co_ci_u32_e64 v8, null, s9, v8, vcc_lo
	global_load_dword v9, v[7:8], off
	s_waitcnt vmcnt(0)
	v_mad_u64_u32 v[9:10], null, v9, s18, v[0:1]
	global_store_dword v[7:8], v9, off
	s_cbranch_execnz .LBB38_13
	s_branch .LBB38_29
.LBB38_28:                              ;   in Loop: Header=BB38_14 Depth=1
.LBB38_29:                              ;   in Loop: Header=BB38_14 Depth=1
	v_lshlrev_b64 v[5:6], 2, v[5:6]
	v_add_co_u32 v5, vcc_lo, s8, v5
	v_add_co_ci_u32_e64 v6, null, s9, v6, vcc_lo
	global_store_dword v[5:6], v0, off
	s_branch .LBB38_13
.LBB38_30:
	s_endpgm
	.section	.rodata,"a",@progbits
	.p2align	6, 0x0
	.amdhsa_kernel _ZN9rocsparseL22bsrxmvn_general_kernelILj1024ELj32EiiiaaiEEv20rocsparse_direction_NS_24const_host_device_scalarIT1_EET3_PKS5_PKT2_SA_S7_PKT4_S5_PKT5_S4_PT6_21rocsparse_index_base_b
		.amdhsa_group_segment_fixed_size 0
		.amdhsa_private_segment_fixed_size 0
		.amdhsa_kernarg_size 104
		.amdhsa_user_sgpr_count 6
		.amdhsa_user_sgpr_private_segment_buffer 1
		.amdhsa_user_sgpr_dispatch_ptr 0
		.amdhsa_user_sgpr_queue_ptr 0
		.amdhsa_user_sgpr_kernarg_segment_ptr 1
		.amdhsa_user_sgpr_dispatch_id 0
		.amdhsa_user_sgpr_flat_scratch_init 0
		.amdhsa_user_sgpr_private_segment_size 0
		.amdhsa_wavefront_size32 1
		.amdhsa_uses_dynamic_stack 0
		.amdhsa_system_sgpr_private_segment_wavefront_offset 0
		.amdhsa_system_sgpr_workgroup_id_x 1
		.amdhsa_system_sgpr_workgroup_id_y 0
		.amdhsa_system_sgpr_workgroup_id_z 0
		.amdhsa_system_sgpr_workgroup_info 0
		.amdhsa_system_vgpr_workitem_id 0
		.amdhsa_next_free_vgpr 23
		.amdhsa_next_free_sgpr 32
		.amdhsa_reserve_vcc 1
		.amdhsa_reserve_flat_scratch 0
		.amdhsa_float_round_mode_32 0
		.amdhsa_float_round_mode_16_64 0
		.amdhsa_float_denorm_mode_32 3
		.amdhsa_float_denorm_mode_16_64 3
		.amdhsa_dx10_clamp 1
		.amdhsa_ieee_mode 1
		.amdhsa_fp16_overflow 0
		.amdhsa_workgroup_processor_mode 1
		.amdhsa_memory_ordered 1
		.amdhsa_forward_progress 1
		.amdhsa_shared_vgpr_count 0
		.amdhsa_exception_fp_ieee_invalid_op 0
		.amdhsa_exception_fp_denorm_src 0
		.amdhsa_exception_fp_ieee_div_zero 0
		.amdhsa_exception_fp_ieee_overflow 0
		.amdhsa_exception_fp_ieee_underflow 0
		.amdhsa_exception_fp_ieee_inexact 0
		.amdhsa_exception_int_div_zero 0
	.end_amdhsa_kernel
	.section	.text._ZN9rocsparseL22bsrxmvn_general_kernelILj1024ELj32EiiiaaiEEv20rocsparse_direction_NS_24const_host_device_scalarIT1_EET3_PKS5_PKT2_SA_S7_PKT4_S5_PKT5_S4_PT6_21rocsparse_index_base_b,"axG",@progbits,_ZN9rocsparseL22bsrxmvn_general_kernelILj1024ELj32EiiiaaiEEv20rocsparse_direction_NS_24const_host_device_scalarIT1_EET3_PKS5_PKT2_SA_S7_PKT4_S5_PKT5_S4_PT6_21rocsparse_index_base_b,comdat
.Lfunc_end38:
	.size	_ZN9rocsparseL22bsrxmvn_general_kernelILj1024ELj32EiiiaaiEEv20rocsparse_direction_NS_24const_host_device_scalarIT1_EET3_PKS5_PKT2_SA_S7_PKT4_S5_PKT5_S4_PT6_21rocsparse_index_base_b, .Lfunc_end38-_ZN9rocsparseL22bsrxmvn_general_kernelILj1024ELj32EiiiaaiEEv20rocsparse_direction_NS_24const_host_device_scalarIT1_EET3_PKS5_PKT2_SA_S7_PKT4_S5_PKT5_S4_PT6_21rocsparse_index_base_b
                                        ; -- End function
	.set _ZN9rocsparseL22bsrxmvn_general_kernelILj1024ELj32EiiiaaiEEv20rocsparse_direction_NS_24const_host_device_scalarIT1_EET3_PKS5_PKT2_SA_S7_PKT4_S5_PKT5_S4_PT6_21rocsparse_index_base_b.num_vgpr, 23
	.set _ZN9rocsparseL22bsrxmvn_general_kernelILj1024ELj32EiiiaaiEEv20rocsparse_direction_NS_24const_host_device_scalarIT1_EET3_PKS5_PKT2_SA_S7_PKT4_S5_PKT5_S4_PT6_21rocsparse_index_base_b.num_agpr, 0
	.set _ZN9rocsparseL22bsrxmvn_general_kernelILj1024ELj32EiiiaaiEEv20rocsparse_direction_NS_24const_host_device_scalarIT1_EET3_PKS5_PKT2_SA_S7_PKT4_S5_PKT5_S4_PT6_21rocsparse_index_base_b.numbered_sgpr, 32
	.set _ZN9rocsparseL22bsrxmvn_general_kernelILj1024ELj32EiiiaaiEEv20rocsparse_direction_NS_24const_host_device_scalarIT1_EET3_PKS5_PKT2_SA_S7_PKT4_S5_PKT5_S4_PT6_21rocsparse_index_base_b.num_named_barrier, 0
	.set _ZN9rocsparseL22bsrxmvn_general_kernelILj1024ELj32EiiiaaiEEv20rocsparse_direction_NS_24const_host_device_scalarIT1_EET3_PKS5_PKT2_SA_S7_PKT4_S5_PKT5_S4_PT6_21rocsparse_index_base_b.private_seg_size, 0
	.set _ZN9rocsparseL22bsrxmvn_general_kernelILj1024ELj32EiiiaaiEEv20rocsparse_direction_NS_24const_host_device_scalarIT1_EET3_PKS5_PKT2_SA_S7_PKT4_S5_PKT5_S4_PT6_21rocsparse_index_base_b.uses_vcc, 1
	.set _ZN9rocsparseL22bsrxmvn_general_kernelILj1024ELj32EiiiaaiEEv20rocsparse_direction_NS_24const_host_device_scalarIT1_EET3_PKS5_PKT2_SA_S7_PKT4_S5_PKT5_S4_PT6_21rocsparse_index_base_b.uses_flat_scratch, 0
	.set _ZN9rocsparseL22bsrxmvn_general_kernelILj1024ELj32EiiiaaiEEv20rocsparse_direction_NS_24const_host_device_scalarIT1_EET3_PKS5_PKT2_SA_S7_PKT4_S5_PKT5_S4_PT6_21rocsparse_index_base_b.has_dyn_sized_stack, 0
	.set _ZN9rocsparseL22bsrxmvn_general_kernelILj1024ELj32EiiiaaiEEv20rocsparse_direction_NS_24const_host_device_scalarIT1_EET3_PKS5_PKT2_SA_S7_PKT4_S5_PKT5_S4_PT6_21rocsparse_index_base_b.has_recursion, 0
	.set _ZN9rocsparseL22bsrxmvn_general_kernelILj1024ELj32EiiiaaiEEv20rocsparse_direction_NS_24const_host_device_scalarIT1_EET3_PKS5_PKT2_SA_S7_PKT4_S5_PKT5_S4_PT6_21rocsparse_index_base_b.has_indirect_call, 0
	.section	.AMDGPU.csdata,"",@progbits
; Kernel info:
; codeLenInByte = 1208
; TotalNumSgprs: 34
; NumVgprs: 23
; ScratchSize: 0
; MemoryBound: 0
; FloatMode: 240
; IeeeMode: 1
; LDSByteSize: 0 bytes/workgroup (compile time only)
; SGPRBlocks: 0
; VGPRBlocks: 2
; NumSGPRsForWavesPerEU: 34
; NumVGPRsForWavesPerEU: 23
; Occupancy: 16
; WaveLimiterHint : 1
; COMPUTE_PGM_RSRC2:SCRATCH_EN: 0
; COMPUTE_PGM_RSRC2:USER_SGPR: 6
; COMPUTE_PGM_RSRC2:TRAP_HANDLER: 0
; COMPUTE_PGM_RSRC2:TGID_X_EN: 1
; COMPUTE_PGM_RSRC2:TGID_Y_EN: 0
; COMPUTE_PGM_RSRC2:TGID_Z_EN: 0
; COMPUTE_PGM_RSRC2:TIDIG_COMP_CNT: 0
	.section	.text._ZN9rocsparseL22bsrxmvn_general_kernelILj64ELj8EiliaaiEEv20rocsparse_direction_NS_24const_host_device_scalarIT1_EET3_PKS5_PKT2_SA_S7_PKT4_S5_PKT5_S4_PT6_21rocsparse_index_base_b,"axG",@progbits,_ZN9rocsparseL22bsrxmvn_general_kernelILj64ELj8EiliaaiEEv20rocsparse_direction_NS_24const_host_device_scalarIT1_EET3_PKS5_PKT2_SA_S7_PKT4_S5_PKT5_S4_PT6_21rocsparse_index_base_b,comdat
	.globl	_ZN9rocsparseL22bsrxmvn_general_kernelILj64ELj8EiliaaiEEv20rocsparse_direction_NS_24const_host_device_scalarIT1_EET3_PKS5_PKT2_SA_S7_PKT4_S5_PKT5_S4_PT6_21rocsparse_index_base_b ; -- Begin function _ZN9rocsparseL22bsrxmvn_general_kernelILj64ELj8EiliaaiEEv20rocsparse_direction_NS_24const_host_device_scalarIT1_EET3_PKS5_PKT2_SA_S7_PKT4_S5_PKT5_S4_PT6_21rocsparse_index_base_b
	.p2align	8
	.type	_ZN9rocsparseL22bsrxmvn_general_kernelILj64ELj8EiliaaiEEv20rocsparse_direction_NS_24const_host_device_scalarIT1_EET3_PKS5_PKT2_SA_S7_PKT4_S5_PKT5_S4_PT6_21rocsparse_index_base_b,@function
_ZN9rocsparseL22bsrxmvn_general_kernelILj64ELj8EiliaaiEEv20rocsparse_direction_NS_24const_host_device_scalarIT1_EET3_PKS5_PKT2_SA_S7_PKT4_S5_PKT5_S4_PT6_21rocsparse_index_base_b: ; @_ZN9rocsparseL22bsrxmvn_general_kernelILj64ELj8EiliaaiEEv20rocsparse_direction_NS_24const_host_device_scalarIT1_EET3_PKS5_PKT2_SA_S7_PKT4_S5_PKT5_S4_PT6_21rocsparse_index_base_b
; %bb.0:
	s_clause 0x1
	s_load_dwordx2 s[2:3], s[4:5], 0x60
	s_load_dwordx2 s[8:9], s[4:5], 0x8
	s_mov_b32 s10, -1
	s_waitcnt lgkmcnt(0)
	s_bitcmp1_b32 s3, 0
                                        ; implicit-def: $sgpr3
	s_cselect_b32 s0, -1, 0
	s_xor_b32 s7, s0, -1
	s_and_b32 vcc_lo, exec_lo, s7
	s_cbranch_vccnz .LBB39_4
; %bb.1:
	s_load_dwordx2 s[0:1], s[4:5], 0x50
	s_andn2_b32 vcc_lo, exec_lo, s10
	s_cbranch_vccz .LBB39_5
.LBB39_2:
	s_and_b32 vcc_lo, exec_lo, s7
	s_cbranch_vccz .LBB39_6
.LBB39_3:
	s_waitcnt lgkmcnt(0)
	s_load_dword s18, s[0:1], 0x0
	s_cbranch_execz .LBB39_7
	s_branch .LBB39_8
.LBB39_4:
	s_load_dword s3, s[8:9], 0x0
	s_load_dwordx2 s[0:1], s[4:5], 0x50
	s_cbranch_execnz .LBB39_2
.LBB39_5:
	s_waitcnt lgkmcnt(0)
	s_mov_b32 s3, s8
	s_and_b32 vcc_lo, exec_lo, s7
	s_cbranch_vccnz .LBB39_3
.LBB39_6:
	s_waitcnt lgkmcnt(0)
                                        ; implicit-def: $sgpr18
.LBB39_7:
	s_waitcnt lgkmcnt(0)
	s_mov_b32 s18, s0
.LBB39_8:
	s_cmp_lg_u32 s3, 0
	s_cselect_b32 s0, -1, 0
	s_waitcnt lgkmcnt(0)
	s_cmp_lg_u32 s18, 1
	s_cselect_b32 s1, -1, 0
	s_or_b32 s0, s0, s1
	s_andn2_b32 vcc_lo, exec_lo, s0
	s_cbranch_vccnz .LBB39_30
; %bb.9:
	s_load_dwordx2 s[0:1], s[4:5], 0x18
	s_waitcnt lgkmcnt(0)
	s_cmp_eq_u64 s[0:1], 0
	s_cbranch_scc1 .LBB39_11
; %bb.10:
	s_ashr_i32 s7, s6, 31
	s_lshl_b64 s[6:7], s[6:7], 2
	s_add_u32 s0, s0, s6
	s_addc_u32 s1, s1, s7
	s_load_dword s0, s[0:1], 0x0
	s_waitcnt lgkmcnt(0)
	s_sub_i32 s6, s0, s2
.LBB39_11:
	s_load_dword s19, s[4:5], 0x40
	v_lshrrev_b32_e32 v1, 3, v0
	s_mov_b32 s0, exec_lo
	s_waitcnt lgkmcnt(0)
	v_cmpx_gt_i32_e64 s19, v1
	s_cbranch_execz .LBB39_30
; %bb.12:
	s_load_dwordx8 s[8:15], s[4:5], 0x20
	s_ashr_i32 s7, s6, 31
	s_load_dword s28, s[4:5], 0x0
	s_lshl_b64 s[0:1], s[6:7], 3
	v_and_b32_e32 v3, 7, v0
	v_mbcnt_lo_u32_b32 v0, -1, 0
	s_mul_hi_u32 s21, s19, s19
	s_mul_i32 s22, s19, s19
	v_mul_lo_u32 v11, s19, v1
	v_mul_lo_u32 v12, s19, v3
	v_xor_b32_e32 v2, 4, v0
	v_xor_b32_e32 v5, 2, v0
	;; [unrolled: 1-line block ×3, first 2 shown]
	v_mov_b32_e32 v4, 0
	s_mov_b32 s20, 0
	v_cmp_gt_i32_e32 vcc_lo, 32, v2
	v_cndmask_b32_e32 v2, v0, v2, vcc_lo
	s_waitcnt lgkmcnt(0)
	s_add_u32 s24, s8, s0
	s_addc_u32 s25, s9, s1
	s_load_dwordx2 s[26:27], s[24:25], 0x0
	s_clause 0x1
	s_load_dwordx2 s[8:9], s[4:5], 0x58
	s_load_dwordx2 s[16:17], s[4:5], 0x48
	v_cmp_gt_i32_e32 vcc_lo, 32, v5
	v_lshlrev_b32_e32 v13, 2, v2
	v_cndmask_b32_e32 v5, v0, v5, vcc_lo
	v_cmp_gt_i32_e32 vcc_lo, 32, v6
	v_lshlrev_b32_e32 v14, 2, v5
	v_cndmask_b32_e32 v0, v0, v6, vcc_lo
	v_lshlrev_b32_e32 v15, 2, v0
	s_waitcnt lgkmcnt(0)
	s_sub_u32 s4, s26, s2
	s_subb_u32 s5, s27, 0
	s_add_u32 s7, s24, 8
	s_addc_u32 s23, s25, 0
	s_add_u32 s0, s10, s0
	s_addc_u32 s1, s11, s1
	s_cmp_eq_u64 s[10:11], 0
	s_mul_i32 s29, s4, s21
	s_cselect_b32 s1, s23, s1
	s_cselect_b32 s0, s7, s0
	s_mul_i32 s23, s6, s19
	s_load_dwordx2 s[10:11], s[0:1], 0x0
	s_mul_hi_u32 s30, s4, s22
	v_cmp_gt_u32_e64 s0, s19, v3
	v_cmp_eq_u32_e64 s1, 7, v3
	s_waitcnt lgkmcnt(0)
	s_sub_u32 s6, s10, s2
	s_subb_u32 s7, s11, 0
	s_cmp_lg_u32 s28, 0
	v_cmp_lt_i64_e64 s25, s[26:27], s[10:11]
	s_cselect_b32 s24, -1, 0
	s_cmp_lg_u32 s18, 0
	s_mul_i32 s28, s5, s22
	s_cselect_b32 s26, -1, 0
	s_add_i32 s10, s30, s29
	s_lshl_b32 s29, s19, 3
	s_add_i32 s27, s10, s28
	s_mul_i32 s28, s4, s22
	s_branch .LBB39_14
.LBB39_13:                              ;   in Loop: Header=BB39_14 Depth=1
	s_or_b32 exec_lo, exec_lo, s10
	v_add_nc_u32_e32 v1, 8, v1
	v_add_nc_u32_e32 v11, s29, v11
	v_cmp_le_i32_e32 vcc_lo, s19, v1
	s_or_b32 s20, vcc_lo, s20
	s_andn2_b32 exec_lo, exec_lo, s20
	s_cbranch_execz .LBB39_30
.LBB39_14:                              ; =>This Loop Header: Depth=1
                                        ;     Child Loop BB39_18 Depth 2
                                        ;       Child Loop BB39_21 Depth 3
	v_mov_b32_e32 v0, 0
	s_andn2_b32 vcc_lo, exec_lo, s25
	s_cbranch_vccnz .LBB39_25
; %bb.15:                               ;   in Loop: Header=BB39_14 Depth=1
	v_ashrrev_i32_e32 v0, 31, v11
	v_add_co_u32 v16, vcc_lo, s28, v11
	s_waitcnt lgkmcnt(0)
	v_ashrrev_i32_e32 v2, 31, v1
	s_mov_b64 s[10:11], s[4:5]
	v_add_co_ci_u32_e64 v17, null, s27, v0, vcc_lo
	v_mov_b32_e32 v0, 0
	s_branch .LBB39_18
.LBB39_16:                              ;   in Loop: Header=BB39_18 Depth=2
	s_inst_prefetch 0x2
	s_or_b32 exec_lo, exec_lo, s31
.LBB39_17:                              ;   in Loop: Header=BB39_18 Depth=2
	s_or_b32 exec_lo, exec_lo, s30
	s_add_u32 s10, s10, 1
	s_addc_u32 s11, s11, 0
	v_add_co_u32 v16, vcc_lo, v16, s22
	v_cmp_ge_i64_e64 s30, s[10:11], s[6:7]
	v_add_co_ci_u32_e64 v17, null, s21, v17, vcc_lo
	s_and_b32 vcc_lo, exec_lo, s30
	s_cbranch_vccnz .LBB39_25
.LBB39_18:                              ;   Parent Loop BB39_14 Depth=1
                                        ; =>  This Loop Header: Depth=2
                                        ;       Child Loop BB39_21 Depth 3
	s_and_saveexec_b32 s30, s0
	s_cbranch_execz .LBB39_17
; %bb.19:                               ;   in Loop: Header=BB39_18 Depth=2
	s_lshl_b64 s[34:35], s[10:11], 2
	v_mad_u64_u32 v[5:6], null, s22, s10, v[1:2]
	s_add_u32 s34, s12, s34
	s_addc_u32 s35, s13, s35
	s_mul_i32 s33, s21, s10
	s_load_dword s31, s[34:35], 0x0
	s_mul_i32 s34, s22, s11
	v_mov_b32_e32 v8, v4
	v_mov_b32_e32 v18, v12
	v_mov_b32_e32 v7, v3
	v_add3_u32 v6, s34, s33, v6
	s_waitcnt lgkmcnt(0)
	s_sub_i32 s31, s31, s2
	s_mul_i32 s33, s31, s19
	s_mov_b32 s31, 0
	s_inst_prefetch 0x1
	s_branch .LBB39_21
	.p2align	6
.LBB39_20:                              ;   in Loop: Header=BB39_21 Depth=3
	v_add_nc_u32_e32 v19, s33, v7
	v_add_co_u32 v9, vcc_lo, s14, v9
	v_add_co_ci_u32_e64 v10, null, s15, v10, vcc_lo
	v_ashrrev_i32_e32 v20, 31, v19
	v_add_co_u32 v19, vcc_lo, s16, v19
	v_add_nc_u32_e32 v18, s29, v18
	v_add_co_ci_u32_e64 v20, null, s17, v20, vcc_lo
	v_add_co_u32 v7, vcc_lo, v7, 8
	global_load_sbyte v9, v[9:10], off
	global_load_sbyte v10, v[19:20], off
	v_add_co_ci_u32_e64 v8, null, 0, v8, vcc_lo
	v_cmp_le_i32_e32 vcc_lo, s19, v7
	s_or_b32 s31, vcc_lo, s31
	s_waitcnt vmcnt(0)
	v_mad_i32_i24 v0, v10, v9, v0
	s_andn2_b32 exec_lo, exec_lo, s31
	s_cbranch_execz .LBB39_16
.LBB39_21:                              ;   Parent Loop BB39_14 Depth=1
                                        ;     Parent Loop BB39_18 Depth=2
                                        ; =>    This Inner Loop Header: Depth=3
	s_and_b32 vcc_lo, exec_lo, s24
	s_cbranch_vccz .LBB39_23
; %bb.22:                               ;   in Loop: Header=BB39_21 Depth=3
	v_ashrrev_i32_e32 v10, 31, v18
	v_add_co_u32 v9, vcc_lo, v5, v18
	v_add_co_ci_u32_e64 v10, null, v6, v10, vcc_lo
	s_cbranch_execnz .LBB39_20
	s_branch .LBB39_24
.LBB39_23:                              ;   in Loop: Header=BB39_21 Depth=3
                                        ; implicit-def: $vgpr9_vgpr10
.LBB39_24:                              ;   in Loop: Header=BB39_21 Depth=3
	v_add_co_u32 v9, vcc_lo, v16, v7
	v_add_co_ci_u32_e64 v10, null, v17, v8, vcc_lo
	s_branch .LBB39_20
.LBB39_25:                              ;   in Loop: Header=BB39_14 Depth=1
	s_waitcnt lgkmcnt(0)
	ds_bpermute_b32 v2, v13, v0
	s_waitcnt lgkmcnt(0)
	v_add_nc_u32_e32 v0, v2, v0
	ds_bpermute_b32 v2, v14, v0
	s_waitcnt lgkmcnt(0)
	v_add_nc_u32_e32 v0, v2, v0
	ds_bpermute_b32 v2, v15, v0
	s_and_saveexec_b32 s10, s1
	s_cbranch_execz .LBB39_13
; %bb.26:                               ;   in Loop: Header=BB39_14 Depth=1
	s_waitcnt lgkmcnt(0)
	v_add_nc_u32_e32 v0, v2, v0
	v_add_nc_u32_e32 v5, s23, v1
	s_andn2_b32 vcc_lo, exec_lo, s26
	v_mul_lo_u32 v0, v0, s3
	v_ashrrev_i32_e32 v6, 31, v5
	s_cbranch_vccnz .LBB39_28
; %bb.27:                               ;   in Loop: Header=BB39_14 Depth=1
	v_lshlrev_b64 v[7:8], 2, v[5:6]
	v_add_co_u32 v7, vcc_lo, s8, v7
	v_add_co_ci_u32_e64 v8, null, s9, v8, vcc_lo
	global_load_dword v2, v[7:8], off
	s_waitcnt vmcnt(0)
	v_mad_u64_u32 v[9:10], null, v2, s18, v[0:1]
	global_store_dword v[7:8], v9, off
	s_cbranch_execnz .LBB39_13
	s_branch .LBB39_29
.LBB39_28:                              ;   in Loop: Header=BB39_14 Depth=1
.LBB39_29:                              ;   in Loop: Header=BB39_14 Depth=1
	v_lshlrev_b64 v[5:6], 2, v[5:6]
	v_add_co_u32 v5, vcc_lo, s8, v5
	v_add_co_ci_u32_e64 v6, null, s9, v6, vcc_lo
	global_store_dword v[5:6], v0, off
	s_branch .LBB39_13
.LBB39_30:
	s_endpgm
	.section	.rodata,"a",@progbits
	.p2align	6, 0x0
	.amdhsa_kernel _ZN9rocsparseL22bsrxmvn_general_kernelILj64ELj8EiliaaiEEv20rocsparse_direction_NS_24const_host_device_scalarIT1_EET3_PKS5_PKT2_SA_S7_PKT4_S5_PKT5_S4_PT6_21rocsparse_index_base_b
		.amdhsa_group_segment_fixed_size 0
		.amdhsa_private_segment_fixed_size 0
		.amdhsa_kernarg_size 104
		.amdhsa_user_sgpr_count 6
		.amdhsa_user_sgpr_private_segment_buffer 1
		.amdhsa_user_sgpr_dispatch_ptr 0
		.amdhsa_user_sgpr_queue_ptr 0
		.amdhsa_user_sgpr_kernarg_segment_ptr 1
		.amdhsa_user_sgpr_dispatch_id 0
		.amdhsa_user_sgpr_flat_scratch_init 0
		.amdhsa_user_sgpr_private_segment_size 0
		.amdhsa_wavefront_size32 1
		.amdhsa_uses_dynamic_stack 0
		.amdhsa_system_sgpr_private_segment_wavefront_offset 0
		.amdhsa_system_sgpr_workgroup_id_x 1
		.amdhsa_system_sgpr_workgroup_id_y 0
		.amdhsa_system_sgpr_workgroup_id_z 0
		.amdhsa_system_sgpr_workgroup_info 0
		.amdhsa_system_vgpr_workitem_id 0
		.amdhsa_next_free_vgpr 21
		.amdhsa_next_free_sgpr 36
		.amdhsa_reserve_vcc 1
		.amdhsa_reserve_flat_scratch 0
		.amdhsa_float_round_mode_32 0
		.amdhsa_float_round_mode_16_64 0
		.amdhsa_float_denorm_mode_32 3
		.amdhsa_float_denorm_mode_16_64 3
		.amdhsa_dx10_clamp 1
		.amdhsa_ieee_mode 1
		.amdhsa_fp16_overflow 0
		.amdhsa_workgroup_processor_mode 1
		.amdhsa_memory_ordered 1
		.amdhsa_forward_progress 1
		.amdhsa_shared_vgpr_count 0
		.amdhsa_exception_fp_ieee_invalid_op 0
		.amdhsa_exception_fp_denorm_src 0
		.amdhsa_exception_fp_ieee_div_zero 0
		.amdhsa_exception_fp_ieee_overflow 0
		.amdhsa_exception_fp_ieee_underflow 0
		.amdhsa_exception_fp_ieee_inexact 0
		.amdhsa_exception_int_div_zero 0
	.end_amdhsa_kernel
	.section	.text._ZN9rocsparseL22bsrxmvn_general_kernelILj64ELj8EiliaaiEEv20rocsparse_direction_NS_24const_host_device_scalarIT1_EET3_PKS5_PKT2_SA_S7_PKT4_S5_PKT5_S4_PT6_21rocsparse_index_base_b,"axG",@progbits,_ZN9rocsparseL22bsrxmvn_general_kernelILj64ELj8EiliaaiEEv20rocsparse_direction_NS_24const_host_device_scalarIT1_EET3_PKS5_PKT2_SA_S7_PKT4_S5_PKT5_S4_PT6_21rocsparse_index_base_b,comdat
.Lfunc_end39:
	.size	_ZN9rocsparseL22bsrxmvn_general_kernelILj64ELj8EiliaaiEEv20rocsparse_direction_NS_24const_host_device_scalarIT1_EET3_PKS5_PKT2_SA_S7_PKT4_S5_PKT5_S4_PT6_21rocsparse_index_base_b, .Lfunc_end39-_ZN9rocsparseL22bsrxmvn_general_kernelILj64ELj8EiliaaiEEv20rocsparse_direction_NS_24const_host_device_scalarIT1_EET3_PKS5_PKT2_SA_S7_PKT4_S5_PKT5_S4_PT6_21rocsparse_index_base_b
                                        ; -- End function
	.set _ZN9rocsparseL22bsrxmvn_general_kernelILj64ELj8EiliaaiEEv20rocsparse_direction_NS_24const_host_device_scalarIT1_EET3_PKS5_PKT2_SA_S7_PKT4_S5_PKT5_S4_PT6_21rocsparse_index_base_b.num_vgpr, 21
	.set _ZN9rocsparseL22bsrxmvn_general_kernelILj64ELj8EiliaaiEEv20rocsparse_direction_NS_24const_host_device_scalarIT1_EET3_PKS5_PKT2_SA_S7_PKT4_S5_PKT5_S4_PT6_21rocsparse_index_base_b.num_agpr, 0
	.set _ZN9rocsparseL22bsrxmvn_general_kernelILj64ELj8EiliaaiEEv20rocsparse_direction_NS_24const_host_device_scalarIT1_EET3_PKS5_PKT2_SA_S7_PKT4_S5_PKT5_S4_PT6_21rocsparse_index_base_b.numbered_sgpr, 36
	.set _ZN9rocsparseL22bsrxmvn_general_kernelILj64ELj8EiliaaiEEv20rocsparse_direction_NS_24const_host_device_scalarIT1_EET3_PKS5_PKT2_SA_S7_PKT4_S5_PKT5_S4_PT6_21rocsparse_index_base_b.num_named_barrier, 0
	.set _ZN9rocsparseL22bsrxmvn_general_kernelILj64ELj8EiliaaiEEv20rocsparse_direction_NS_24const_host_device_scalarIT1_EET3_PKS5_PKT2_SA_S7_PKT4_S5_PKT5_S4_PT6_21rocsparse_index_base_b.private_seg_size, 0
	.set _ZN9rocsparseL22bsrxmvn_general_kernelILj64ELj8EiliaaiEEv20rocsparse_direction_NS_24const_host_device_scalarIT1_EET3_PKS5_PKT2_SA_S7_PKT4_S5_PKT5_S4_PT6_21rocsparse_index_base_b.uses_vcc, 1
	.set _ZN9rocsparseL22bsrxmvn_general_kernelILj64ELj8EiliaaiEEv20rocsparse_direction_NS_24const_host_device_scalarIT1_EET3_PKS5_PKT2_SA_S7_PKT4_S5_PKT5_S4_PT6_21rocsparse_index_base_b.uses_flat_scratch, 0
	.set _ZN9rocsparseL22bsrxmvn_general_kernelILj64ELj8EiliaaiEEv20rocsparse_direction_NS_24const_host_device_scalarIT1_EET3_PKS5_PKT2_SA_S7_PKT4_S5_PKT5_S4_PT6_21rocsparse_index_base_b.has_dyn_sized_stack, 0
	.set _ZN9rocsparseL22bsrxmvn_general_kernelILj64ELj8EiliaaiEEv20rocsparse_direction_NS_24const_host_device_scalarIT1_EET3_PKS5_PKT2_SA_S7_PKT4_S5_PKT5_S4_PT6_21rocsparse_index_base_b.has_recursion, 0
	.set _ZN9rocsparseL22bsrxmvn_general_kernelILj64ELj8EiliaaiEEv20rocsparse_direction_NS_24const_host_device_scalarIT1_EET3_PKS5_PKT2_SA_S7_PKT4_S5_PKT5_S4_PT6_21rocsparse_index_base_b.has_indirect_call, 0
	.section	.AMDGPU.csdata,"",@progbits
; Kernel info:
; codeLenInByte = 1112
; TotalNumSgprs: 38
; NumVgprs: 21
; ScratchSize: 0
; MemoryBound: 0
; FloatMode: 240
; IeeeMode: 1
; LDSByteSize: 0 bytes/workgroup (compile time only)
; SGPRBlocks: 0
; VGPRBlocks: 2
; NumSGPRsForWavesPerEU: 38
; NumVGPRsForWavesPerEU: 21
; Occupancy: 16
; WaveLimiterHint : 1
; COMPUTE_PGM_RSRC2:SCRATCH_EN: 0
; COMPUTE_PGM_RSRC2:USER_SGPR: 6
; COMPUTE_PGM_RSRC2:TRAP_HANDLER: 0
; COMPUTE_PGM_RSRC2:TGID_X_EN: 1
; COMPUTE_PGM_RSRC2:TGID_Y_EN: 0
; COMPUTE_PGM_RSRC2:TGID_Z_EN: 0
; COMPUTE_PGM_RSRC2:TIDIG_COMP_CNT: 0
	.section	.text._ZN9rocsparseL22bsrxmvn_general_kernelILj256ELj16EiliaaiEEv20rocsparse_direction_NS_24const_host_device_scalarIT1_EET3_PKS5_PKT2_SA_S7_PKT4_S5_PKT5_S4_PT6_21rocsparse_index_base_b,"axG",@progbits,_ZN9rocsparseL22bsrxmvn_general_kernelILj256ELj16EiliaaiEEv20rocsparse_direction_NS_24const_host_device_scalarIT1_EET3_PKS5_PKT2_SA_S7_PKT4_S5_PKT5_S4_PT6_21rocsparse_index_base_b,comdat
	.globl	_ZN9rocsparseL22bsrxmvn_general_kernelILj256ELj16EiliaaiEEv20rocsparse_direction_NS_24const_host_device_scalarIT1_EET3_PKS5_PKT2_SA_S7_PKT4_S5_PKT5_S4_PT6_21rocsparse_index_base_b ; -- Begin function _ZN9rocsparseL22bsrxmvn_general_kernelILj256ELj16EiliaaiEEv20rocsparse_direction_NS_24const_host_device_scalarIT1_EET3_PKS5_PKT2_SA_S7_PKT4_S5_PKT5_S4_PT6_21rocsparse_index_base_b
	.p2align	8
	.type	_ZN9rocsparseL22bsrxmvn_general_kernelILj256ELj16EiliaaiEEv20rocsparse_direction_NS_24const_host_device_scalarIT1_EET3_PKS5_PKT2_SA_S7_PKT4_S5_PKT5_S4_PT6_21rocsparse_index_base_b,@function
_ZN9rocsparseL22bsrxmvn_general_kernelILj256ELj16EiliaaiEEv20rocsparse_direction_NS_24const_host_device_scalarIT1_EET3_PKS5_PKT2_SA_S7_PKT4_S5_PKT5_S4_PT6_21rocsparse_index_base_b: ; @_ZN9rocsparseL22bsrxmvn_general_kernelILj256ELj16EiliaaiEEv20rocsparse_direction_NS_24const_host_device_scalarIT1_EET3_PKS5_PKT2_SA_S7_PKT4_S5_PKT5_S4_PT6_21rocsparse_index_base_b
; %bb.0:
	s_clause 0x1
	s_load_dwordx2 s[2:3], s[4:5], 0x60
	s_load_dwordx2 s[8:9], s[4:5], 0x8
	s_mov_b32 s10, -1
	s_waitcnt lgkmcnt(0)
	s_bitcmp1_b32 s3, 0
                                        ; implicit-def: $sgpr3
	s_cselect_b32 s0, -1, 0
	s_xor_b32 s7, s0, -1
	s_and_b32 vcc_lo, exec_lo, s7
	s_cbranch_vccnz .LBB40_4
; %bb.1:
	s_load_dwordx2 s[0:1], s[4:5], 0x50
	s_andn2_b32 vcc_lo, exec_lo, s10
	s_cbranch_vccz .LBB40_5
.LBB40_2:
	s_and_b32 vcc_lo, exec_lo, s7
	s_cbranch_vccz .LBB40_6
.LBB40_3:
	s_waitcnt lgkmcnt(0)
	s_load_dword s20, s[0:1], 0x0
	s_cbranch_execz .LBB40_7
	s_branch .LBB40_8
.LBB40_4:
	s_load_dword s3, s[8:9], 0x0
	s_load_dwordx2 s[0:1], s[4:5], 0x50
	s_cbranch_execnz .LBB40_2
.LBB40_5:
	s_waitcnt lgkmcnt(0)
	s_mov_b32 s3, s8
	s_and_b32 vcc_lo, exec_lo, s7
	s_cbranch_vccnz .LBB40_3
.LBB40_6:
	s_waitcnt lgkmcnt(0)
                                        ; implicit-def: $sgpr20
.LBB40_7:
	s_waitcnt lgkmcnt(0)
	s_mov_b32 s20, s0
.LBB40_8:
	s_cmp_lg_u32 s3, 0
	s_cselect_b32 s0, -1, 0
	s_waitcnt lgkmcnt(0)
	s_cmp_lg_u32 s20, 1
	s_cselect_b32 s1, -1, 0
	s_or_b32 s0, s0, s1
	s_andn2_b32 vcc_lo, exec_lo, s0
	s_cbranch_vccnz .LBB40_30
; %bb.9:
	s_load_dwordx2 s[0:1], s[4:5], 0x18
	s_waitcnt lgkmcnt(0)
	s_cmp_eq_u64 s[0:1], 0
	s_cbranch_scc1 .LBB40_11
; %bb.10:
	s_ashr_i32 s7, s6, 31
	s_lshl_b64 s[6:7], s[6:7], 2
	s_add_u32 s0, s0, s6
	s_addc_u32 s1, s1, s7
	s_load_dword s0, s[0:1], 0x0
	s_waitcnt lgkmcnt(0)
	s_sub_i32 s6, s0, s2
.LBB40_11:
	s_load_dword s21, s[4:5], 0x40
	v_lshrrev_b32_e32 v1, 4, v0
	s_mov_b32 s0, exec_lo
	s_waitcnt lgkmcnt(0)
	v_cmpx_gt_i32_e64 s21, v1
	s_cbranch_execz .LBB40_30
; %bb.12:
	s_load_dwordx8 s[8:15], s[4:5], 0x20
	s_ashr_i32 s7, s6, 31
	v_and_b32_e32 v3, 15, v0
	s_lshl_b64 s[0:1], s[6:7], 3
	s_load_dword s28, s[4:5], 0x0
	v_mbcnt_lo_u32_b32 v0, -1, 0
	s_mul_i32 s25, s6, s21
	s_mul_hi_u32 s23, s21, s21
	s_mul_i32 s24, s21, s21
	v_mul_lo_u32 v11, s21, v1
	v_xor_b32_e32 v2, 8, v0
	v_xor_b32_e32 v5, 4, v0
	;; [unrolled: 1-line block ×4, first 2 shown]
	v_mul_lo_u32 v12, s21, v3
	v_cmp_gt_i32_e32 vcc_lo, 32, v2
	v_mov_b32_e32 v4, 0
	s_mov_b32 s22, 0
	v_cndmask_b32_e32 v2, v0, v2, vcc_lo
	s_waitcnt lgkmcnt(0)
	s_add_u32 s26, s8, s0
	s_addc_u32 s27, s9, s1
	s_load_dwordx2 s[18:19], s[26:27], 0x0
	s_clause 0x1
	s_load_dwordx2 s[8:9], s[4:5], 0x58
	s_load_dwordx2 s[16:17], s[4:5], 0x48
	v_cmp_gt_i32_e32 vcc_lo, 32, v5
	v_lshlrev_b32_e32 v13, 2, v2
	v_cndmask_b32_e32 v5, v0, v5, vcc_lo
	v_cmp_gt_i32_e32 vcc_lo, 32, v6
	v_lshlrev_b32_e32 v14, 2, v5
	v_cndmask_b32_e32 v6, v0, v6, vcc_lo
	v_cmp_gt_i32_e32 vcc_lo, 32, v7
	v_lshlrev_b32_e32 v15, 2, v6
	s_waitcnt lgkmcnt(0)
	s_sub_u32 s4, s18, s2
	s_subb_u32 s5, s19, 0
	s_add_u32 s6, s26, 8
	s_addc_u32 s7, s27, 0
	s_add_u32 s26, s10, s0
	s_addc_u32 s1, s11, s1
	s_cmp_eq_u64 s[10:11], 0
	v_cndmask_b32_e32 v0, v0, v7, vcc_lo
	s_cselect_b32 s7, s7, s1
	s_cselect_b32 s6, s6, s26
	s_mul_i32 s27, s4, s23
	s_load_dwordx2 s[10:11], s[6:7], 0x0
	s_mul_hi_u32 s29, s4, s24
	v_cmp_gt_u32_e64 s0, s21, v3
	v_cmp_eq_u32_e64 s1, 15, v3
	v_lshlrev_b32_e32 v16, 2, v0
	s_waitcnt lgkmcnt(0)
	s_sub_u32 s6, s10, s2
	s_subb_u32 s7, s11, 0
	s_cmp_lg_u32 s28, 0
	v_cmp_lt_i64_e64 s18, s[18:19], s[10:11]
	s_cselect_b32 s26, -1, 0
	s_cmp_lg_u32 s20, 0
	s_mul_i32 s28, s5, s24
	s_cselect_b32 s19, -1, 0
	s_add_i32 s10, s29, s27
	s_lshl_b32 s29, s21, 4
	s_add_i32 s27, s10, s28
	s_mul_i32 s28, s4, s24
	s_branch .LBB40_14
.LBB40_13:                              ;   in Loop: Header=BB40_14 Depth=1
	s_or_b32 exec_lo, exec_lo, s10
	v_add_nc_u32_e32 v1, 16, v1
	v_add_nc_u32_e32 v11, s29, v11
	v_cmp_le_i32_e32 vcc_lo, s21, v1
	s_or_b32 s22, vcc_lo, s22
	s_andn2_b32 exec_lo, exec_lo, s22
	s_cbranch_execz .LBB40_30
.LBB40_14:                              ; =>This Loop Header: Depth=1
                                        ;     Child Loop BB40_18 Depth 2
                                        ;       Child Loop BB40_21 Depth 3
	v_mov_b32_e32 v0, 0
	s_andn2_b32 vcc_lo, exec_lo, s18
	s_cbranch_vccnz .LBB40_25
; %bb.15:                               ;   in Loop: Header=BB40_14 Depth=1
	v_ashrrev_i32_e32 v0, 31, v11
	v_add_co_u32 v17, vcc_lo, s28, v11
	s_waitcnt lgkmcnt(0)
	v_ashrrev_i32_e32 v2, 31, v1
	s_mov_b64 s[10:11], s[4:5]
	v_add_co_ci_u32_e64 v18, null, s27, v0, vcc_lo
	v_mov_b32_e32 v0, 0
	s_branch .LBB40_18
.LBB40_16:                              ;   in Loop: Header=BB40_18 Depth=2
	s_inst_prefetch 0x2
	s_or_b32 exec_lo, exec_lo, s31
.LBB40_17:                              ;   in Loop: Header=BB40_18 Depth=2
	s_or_b32 exec_lo, exec_lo, s30
	s_add_u32 s10, s10, 1
	s_addc_u32 s11, s11, 0
	v_add_co_u32 v17, vcc_lo, v17, s24
	v_cmp_ge_i64_e64 s30, s[10:11], s[6:7]
	v_add_co_ci_u32_e64 v18, null, s23, v18, vcc_lo
	s_and_b32 vcc_lo, exec_lo, s30
	s_cbranch_vccnz .LBB40_25
.LBB40_18:                              ;   Parent Loop BB40_14 Depth=1
                                        ; =>  This Loop Header: Depth=2
                                        ;       Child Loop BB40_21 Depth 3
	s_and_saveexec_b32 s30, s0
	s_cbranch_execz .LBB40_17
; %bb.19:                               ;   in Loop: Header=BB40_18 Depth=2
	s_lshl_b64 s[34:35], s[10:11], 2
	v_mad_u64_u32 v[5:6], null, s24, s10, v[1:2]
	s_add_u32 s34, s12, s34
	s_addc_u32 s35, s13, s35
	s_mul_i32 s33, s23, s10
	s_load_dword s31, s[34:35], 0x0
	s_mul_i32 s34, s24, s11
	v_mov_b32_e32 v8, v4
	v_mov_b32_e32 v19, v12
	;; [unrolled: 1-line block ×3, first 2 shown]
	v_add3_u32 v6, s34, s33, v6
	s_waitcnt lgkmcnt(0)
	s_sub_i32 s31, s31, s2
	s_mul_i32 s33, s31, s21
	s_mov_b32 s31, 0
	s_inst_prefetch 0x1
	s_branch .LBB40_21
	.p2align	6
.LBB40_20:                              ;   in Loop: Header=BB40_21 Depth=3
	v_add_nc_u32_e32 v20, s33, v7
	v_add_co_u32 v9, vcc_lo, s14, v9
	v_add_co_ci_u32_e64 v10, null, s15, v10, vcc_lo
	v_ashrrev_i32_e32 v21, 31, v20
	v_add_co_u32 v20, vcc_lo, s16, v20
	v_add_nc_u32_e32 v19, s29, v19
	v_add_co_ci_u32_e64 v21, null, s17, v21, vcc_lo
	v_add_co_u32 v7, vcc_lo, v7, 16
	global_load_sbyte v9, v[9:10], off
	global_load_sbyte v10, v[20:21], off
	v_add_co_ci_u32_e64 v8, null, 0, v8, vcc_lo
	v_cmp_le_i32_e32 vcc_lo, s21, v7
	s_or_b32 s31, vcc_lo, s31
	s_waitcnt vmcnt(0)
	v_mad_i32_i24 v0, v10, v9, v0
	s_andn2_b32 exec_lo, exec_lo, s31
	s_cbranch_execz .LBB40_16
.LBB40_21:                              ;   Parent Loop BB40_14 Depth=1
                                        ;     Parent Loop BB40_18 Depth=2
                                        ; =>    This Inner Loop Header: Depth=3
	s_and_b32 vcc_lo, exec_lo, s26
	s_cbranch_vccz .LBB40_23
; %bb.22:                               ;   in Loop: Header=BB40_21 Depth=3
	v_ashrrev_i32_e32 v10, 31, v19
	v_add_co_u32 v9, vcc_lo, v5, v19
	v_add_co_ci_u32_e64 v10, null, v6, v10, vcc_lo
	s_cbranch_execnz .LBB40_20
	s_branch .LBB40_24
.LBB40_23:                              ;   in Loop: Header=BB40_21 Depth=3
                                        ; implicit-def: $vgpr9_vgpr10
.LBB40_24:                              ;   in Loop: Header=BB40_21 Depth=3
	v_add_co_u32 v9, vcc_lo, v17, v7
	v_add_co_ci_u32_e64 v10, null, v18, v8, vcc_lo
	s_branch .LBB40_20
.LBB40_25:                              ;   in Loop: Header=BB40_14 Depth=1
	s_waitcnt lgkmcnt(0)
	ds_bpermute_b32 v2, v13, v0
	s_waitcnt lgkmcnt(0)
	v_add_nc_u32_e32 v0, v2, v0
	ds_bpermute_b32 v2, v14, v0
	s_waitcnt lgkmcnt(0)
	v_add_nc_u32_e32 v0, v2, v0
	;; [unrolled: 3-line block ×3, first 2 shown]
	ds_bpermute_b32 v2, v16, v0
	s_and_saveexec_b32 s10, s1
	s_cbranch_execz .LBB40_13
; %bb.26:                               ;   in Loop: Header=BB40_14 Depth=1
	s_waitcnt lgkmcnt(0)
	v_add_nc_u32_e32 v0, v2, v0
	v_add_nc_u32_e32 v5, s25, v1
	s_andn2_b32 vcc_lo, exec_lo, s19
	v_mul_lo_u32 v0, v0, s3
	v_ashrrev_i32_e32 v6, 31, v5
	s_cbranch_vccnz .LBB40_28
; %bb.27:                               ;   in Loop: Header=BB40_14 Depth=1
	v_lshlrev_b64 v[7:8], 2, v[5:6]
	v_add_co_u32 v7, vcc_lo, s8, v7
	v_add_co_ci_u32_e64 v8, null, s9, v8, vcc_lo
	global_load_dword v2, v[7:8], off
	s_waitcnt vmcnt(0)
	v_mad_u64_u32 v[9:10], null, v2, s20, v[0:1]
	global_store_dword v[7:8], v9, off
	s_cbranch_execnz .LBB40_13
	s_branch .LBB40_29
.LBB40_28:                              ;   in Loop: Header=BB40_14 Depth=1
.LBB40_29:                              ;   in Loop: Header=BB40_14 Depth=1
	v_lshlrev_b64 v[5:6], 2, v[5:6]
	v_add_co_u32 v5, vcc_lo, s8, v5
	v_add_co_ci_u32_e64 v6, null, s9, v6, vcc_lo
	global_store_dword v[5:6], v0, off
	s_branch .LBB40_13
.LBB40_30:
	s_endpgm
	.section	.rodata,"a",@progbits
	.p2align	6, 0x0
	.amdhsa_kernel _ZN9rocsparseL22bsrxmvn_general_kernelILj256ELj16EiliaaiEEv20rocsparse_direction_NS_24const_host_device_scalarIT1_EET3_PKS5_PKT2_SA_S7_PKT4_S5_PKT5_S4_PT6_21rocsparse_index_base_b
		.amdhsa_group_segment_fixed_size 0
		.amdhsa_private_segment_fixed_size 0
		.amdhsa_kernarg_size 104
		.amdhsa_user_sgpr_count 6
		.amdhsa_user_sgpr_private_segment_buffer 1
		.amdhsa_user_sgpr_dispatch_ptr 0
		.amdhsa_user_sgpr_queue_ptr 0
		.amdhsa_user_sgpr_kernarg_segment_ptr 1
		.amdhsa_user_sgpr_dispatch_id 0
		.amdhsa_user_sgpr_flat_scratch_init 0
		.amdhsa_user_sgpr_private_segment_size 0
		.amdhsa_wavefront_size32 1
		.amdhsa_uses_dynamic_stack 0
		.amdhsa_system_sgpr_private_segment_wavefront_offset 0
		.amdhsa_system_sgpr_workgroup_id_x 1
		.amdhsa_system_sgpr_workgroup_id_y 0
		.amdhsa_system_sgpr_workgroup_id_z 0
		.amdhsa_system_sgpr_workgroup_info 0
		.amdhsa_system_vgpr_workitem_id 0
		.amdhsa_next_free_vgpr 22
		.amdhsa_next_free_sgpr 36
		.amdhsa_reserve_vcc 1
		.amdhsa_reserve_flat_scratch 0
		.amdhsa_float_round_mode_32 0
		.amdhsa_float_round_mode_16_64 0
		.amdhsa_float_denorm_mode_32 3
		.amdhsa_float_denorm_mode_16_64 3
		.amdhsa_dx10_clamp 1
		.amdhsa_ieee_mode 1
		.amdhsa_fp16_overflow 0
		.amdhsa_workgroup_processor_mode 1
		.amdhsa_memory_ordered 1
		.amdhsa_forward_progress 1
		.amdhsa_shared_vgpr_count 0
		.amdhsa_exception_fp_ieee_invalid_op 0
		.amdhsa_exception_fp_denorm_src 0
		.amdhsa_exception_fp_ieee_div_zero 0
		.amdhsa_exception_fp_ieee_overflow 0
		.amdhsa_exception_fp_ieee_underflow 0
		.amdhsa_exception_fp_ieee_inexact 0
		.amdhsa_exception_int_div_zero 0
	.end_amdhsa_kernel
	.section	.text._ZN9rocsparseL22bsrxmvn_general_kernelILj256ELj16EiliaaiEEv20rocsparse_direction_NS_24const_host_device_scalarIT1_EET3_PKS5_PKT2_SA_S7_PKT4_S5_PKT5_S4_PT6_21rocsparse_index_base_b,"axG",@progbits,_ZN9rocsparseL22bsrxmvn_general_kernelILj256ELj16EiliaaiEEv20rocsparse_direction_NS_24const_host_device_scalarIT1_EET3_PKS5_PKT2_SA_S7_PKT4_S5_PKT5_S4_PT6_21rocsparse_index_base_b,comdat
.Lfunc_end40:
	.size	_ZN9rocsparseL22bsrxmvn_general_kernelILj256ELj16EiliaaiEEv20rocsparse_direction_NS_24const_host_device_scalarIT1_EET3_PKS5_PKT2_SA_S7_PKT4_S5_PKT5_S4_PT6_21rocsparse_index_base_b, .Lfunc_end40-_ZN9rocsparseL22bsrxmvn_general_kernelILj256ELj16EiliaaiEEv20rocsparse_direction_NS_24const_host_device_scalarIT1_EET3_PKS5_PKT2_SA_S7_PKT4_S5_PKT5_S4_PT6_21rocsparse_index_base_b
                                        ; -- End function
	.set _ZN9rocsparseL22bsrxmvn_general_kernelILj256ELj16EiliaaiEEv20rocsparse_direction_NS_24const_host_device_scalarIT1_EET3_PKS5_PKT2_SA_S7_PKT4_S5_PKT5_S4_PT6_21rocsparse_index_base_b.num_vgpr, 22
	.set _ZN9rocsparseL22bsrxmvn_general_kernelILj256ELj16EiliaaiEEv20rocsparse_direction_NS_24const_host_device_scalarIT1_EET3_PKS5_PKT2_SA_S7_PKT4_S5_PKT5_S4_PT6_21rocsparse_index_base_b.num_agpr, 0
	.set _ZN9rocsparseL22bsrxmvn_general_kernelILj256ELj16EiliaaiEEv20rocsparse_direction_NS_24const_host_device_scalarIT1_EET3_PKS5_PKT2_SA_S7_PKT4_S5_PKT5_S4_PT6_21rocsparse_index_base_b.numbered_sgpr, 36
	.set _ZN9rocsparseL22bsrxmvn_general_kernelILj256ELj16EiliaaiEEv20rocsparse_direction_NS_24const_host_device_scalarIT1_EET3_PKS5_PKT2_SA_S7_PKT4_S5_PKT5_S4_PT6_21rocsparse_index_base_b.num_named_barrier, 0
	.set _ZN9rocsparseL22bsrxmvn_general_kernelILj256ELj16EiliaaiEEv20rocsparse_direction_NS_24const_host_device_scalarIT1_EET3_PKS5_PKT2_SA_S7_PKT4_S5_PKT5_S4_PT6_21rocsparse_index_base_b.private_seg_size, 0
	.set _ZN9rocsparseL22bsrxmvn_general_kernelILj256ELj16EiliaaiEEv20rocsparse_direction_NS_24const_host_device_scalarIT1_EET3_PKS5_PKT2_SA_S7_PKT4_S5_PKT5_S4_PT6_21rocsparse_index_base_b.uses_vcc, 1
	.set _ZN9rocsparseL22bsrxmvn_general_kernelILj256ELj16EiliaaiEEv20rocsparse_direction_NS_24const_host_device_scalarIT1_EET3_PKS5_PKT2_SA_S7_PKT4_S5_PKT5_S4_PT6_21rocsparse_index_base_b.uses_flat_scratch, 0
	.set _ZN9rocsparseL22bsrxmvn_general_kernelILj256ELj16EiliaaiEEv20rocsparse_direction_NS_24const_host_device_scalarIT1_EET3_PKS5_PKT2_SA_S7_PKT4_S5_PKT5_S4_PT6_21rocsparse_index_base_b.has_dyn_sized_stack, 0
	.set _ZN9rocsparseL22bsrxmvn_general_kernelILj256ELj16EiliaaiEEv20rocsparse_direction_NS_24const_host_device_scalarIT1_EET3_PKS5_PKT2_SA_S7_PKT4_S5_PKT5_S4_PT6_21rocsparse_index_base_b.has_recursion, 0
	.set _ZN9rocsparseL22bsrxmvn_general_kernelILj256ELj16EiliaaiEEv20rocsparse_direction_NS_24const_host_device_scalarIT1_EET3_PKS5_PKT2_SA_S7_PKT4_S5_PKT5_S4_PT6_21rocsparse_index_base_b.has_indirect_call, 0
	.section	.AMDGPU.csdata,"",@progbits
; Kernel info:
; codeLenInByte = 1192
; TotalNumSgprs: 38
; NumVgprs: 22
; ScratchSize: 0
; MemoryBound: 0
; FloatMode: 240
; IeeeMode: 1
; LDSByteSize: 0 bytes/workgroup (compile time only)
; SGPRBlocks: 0
; VGPRBlocks: 2
; NumSGPRsForWavesPerEU: 38
; NumVGPRsForWavesPerEU: 22
; Occupancy: 16
; WaveLimiterHint : 1
; COMPUTE_PGM_RSRC2:SCRATCH_EN: 0
; COMPUTE_PGM_RSRC2:USER_SGPR: 6
; COMPUTE_PGM_RSRC2:TRAP_HANDLER: 0
; COMPUTE_PGM_RSRC2:TGID_X_EN: 1
; COMPUTE_PGM_RSRC2:TGID_Y_EN: 0
; COMPUTE_PGM_RSRC2:TGID_Z_EN: 0
; COMPUTE_PGM_RSRC2:TIDIG_COMP_CNT: 0
	.section	.text._ZN9rocsparseL22bsrxmvn_general_kernelILj1024ELj32EiliaaiEEv20rocsparse_direction_NS_24const_host_device_scalarIT1_EET3_PKS5_PKT2_SA_S7_PKT4_S5_PKT5_S4_PT6_21rocsparse_index_base_b,"axG",@progbits,_ZN9rocsparseL22bsrxmvn_general_kernelILj1024ELj32EiliaaiEEv20rocsparse_direction_NS_24const_host_device_scalarIT1_EET3_PKS5_PKT2_SA_S7_PKT4_S5_PKT5_S4_PT6_21rocsparse_index_base_b,comdat
	.globl	_ZN9rocsparseL22bsrxmvn_general_kernelILj1024ELj32EiliaaiEEv20rocsparse_direction_NS_24const_host_device_scalarIT1_EET3_PKS5_PKT2_SA_S7_PKT4_S5_PKT5_S4_PT6_21rocsparse_index_base_b ; -- Begin function _ZN9rocsparseL22bsrxmvn_general_kernelILj1024ELj32EiliaaiEEv20rocsparse_direction_NS_24const_host_device_scalarIT1_EET3_PKS5_PKT2_SA_S7_PKT4_S5_PKT5_S4_PT6_21rocsparse_index_base_b
	.p2align	8
	.type	_ZN9rocsparseL22bsrxmvn_general_kernelILj1024ELj32EiliaaiEEv20rocsparse_direction_NS_24const_host_device_scalarIT1_EET3_PKS5_PKT2_SA_S7_PKT4_S5_PKT5_S4_PT6_21rocsparse_index_base_b,@function
_ZN9rocsparseL22bsrxmvn_general_kernelILj1024ELj32EiliaaiEEv20rocsparse_direction_NS_24const_host_device_scalarIT1_EET3_PKS5_PKT2_SA_S7_PKT4_S5_PKT5_S4_PT6_21rocsparse_index_base_b: ; @_ZN9rocsparseL22bsrxmvn_general_kernelILj1024ELj32EiliaaiEEv20rocsparse_direction_NS_24const_host_device_scalarIT1_EET3_PKS5_PKT2_SA_S7_PKT4_S5_PKT5_S4_PT6_21rocsparse_index_base_b
; %bb.0:
	s_clause 0x1
	s_load_dwordx2 s[2:3], s[4:5], 0x60
	s_load_dwordx2 s[8:9], s[4:5], 0x8
	s_mov_b32 s10, -1
	s_waitcnt lgkmcnt(0)
	s_bitcmp1_b32 s3, 0
                                        ; implicit-def: $sgpr3
	s_cselect_b32 s0, -1, 0
	s_xor_b32 s7, s0, -1
	s_and_b32 vcc_lo, exec_lo, s7
	s_cbranch_vccnz .LBB41_4
; %bb.1:
	s_load_dwordx2 s[0:1], s[4:5], 0x50
	s_andn2_b32 vcc_lo, exec_lo, s10
	s_cbranch_vccz .LBB41_5
.LBB41_2:
	s_and_b32 vcc_lo, exec_lo, s7
	s_cbranch_vccz .LBB41_6
.LBB41_3:
	s_waitcnt lgkmcnt(0)
	s_load_dword s20, s[0:1], 0x0
	s_cbranch_execz .LBB41_7
	s_branch .LBB41_8
.LBB41_4:
	s_load_dword s3, s[8:9], 0x0
	s_load_dwordx2 s[0:1], s[4:5], 0x50
	s_cbranch_execnz .LBB41_2
.LBB41_5:
	s_waitcnt lgkmcnt(0)
	s_mov_b32 s3, s8
	s_and_b32 vcc_lo, exec_lo, s7
	s_cbranch_vccnz .LBB41_3
.LBB41_6:
	s_waitcnt lgkmcnt(0)
                                        ; implicit-def: $sgpr20
.LBB41_7:
	s_waitcnt lgkmcnt(0)
	s_mov_b32 s20, s0
.LBB41_8:
	s_cmp_lg_u32 s3, 0
	s_cselect_b32 s0, -1, 0
	s_waitcnt lgkmcnt(0)
	s_cmp_lg_u32 s20, 1
	s_cselect_b32 s1, -1, 0
	s_or_b32 s0, s0, s1
	s_andn2_b32 vcc_lo, exec_lo, s0
	s_cbranch_vccnz .LBB41_30
; %bb.9:
	s_load_dwordx2 s[0:1], s[4:5], 0x18
	s_waitcnt lgkmcnt(0)
	s_cmp_eq_u64 s[0:1], 0
	s_cbranch_scc1 .LBB41_11
; %bb.10:
	s_ashr_i32 s7, s6, 31
	s_lshl_b64 s[6:7], s[6:7], 2
	s_add_u32 s0, s0, s6
	s_addc_u32 s1, s1, s7
	s_load_dword s0, s[0:1], 0x0
	s_waitcnt lgkmcnt(0)
	s_sub_i32 s6, s0, s2
.LBB41_11:
	s_load_dword s21, s[4:5], 0x40
	v_lshrrev_b32_e32 v1, 5, v0
	s_mov_b32 s0, exec_lo
	s_waitcnt lgkmcnt(0)
	v_cmpx_gt_i32_e64 s21, v1
	s_cbranch_execz .LBB41_30
; %bb.12:
	s_load_dwordx8 s[8:15], s[4:5], 0x20
	s_ashr_i32 s7, s6, 31
	v_and_b32_e32 v3, 31, v0
	s_lshl_b64 s[26:27], s[6:7], 3
	v_mbcnt_lo_u32_b32 v0, -1, 0
	s_load_dword s30, s[4:5], 0x0
	s_mul_i32 s25, s6, s21
	v_mov_b32_e32 v2, 0
	s_mul_hi_u32 s23, s21, s21
	v_xor_b32_e32 v5, 16, v0
	v_xor_b32_e32 v6, 8, v0
	;; [unrolled: 1-line block ×5, first 2 shown]
	v_cmp_gt_i32_e32 vcc_lo, 32, v5
	s_mul_i32 s24, s21, s21
	v_mul_lo_u32 v11, s21, v1
	v_mul_lo_u32 v12, s21, v3
	v_cmp_gt_u32_e64 s0, s21, v3
	v_cndmask_b32_e32 v5, v0, v5, vcc_lo
	s_waitcnt lgkmcnt(0)
	s_add_u32 s28, s8, s26
	s_addc_u32 s29, s9, s27
	v_cmp_gt_i32_e32 vcc_lo, 32, v6
	s_load_dwordx2 s[18:19], s[28:29], 0x0
	s_clause 0x1
	s_load_dwordx2 s[8:9], s[4:5], 0x58
	s_load_dwordx2 s[16:17], s[4:5], 0x48
	v_mov_b32_e32 v4, v2
	v_lshlrev_b32_e32 v13, 2, v5
	s_mov_b32 s22, 0
	v_cndmask_b32_e32 v6, v0, v6, vcc_lo
	v_cmp_gt_i32_e32 vcc_lo, 32, v7
	v_lshlrev_b32_e32 v14, 2, v6
	v_cndmask_b32_e32 v7, v0, v7, vcc_lo
	v_cmp_gt_i32_e32 vcc_lo, 32, v8
	v_lshlrev_b32_e32 v15, 2, v7
	v_cndmask_b32_e32 v8, v0, v8, vcc_lo
	v_cmp_gt_i32_e32 vcc_lo, 32, v9
	s_waitcnt lgkmcnt(0)
	s_sub_u32 s4, s18, s2
	s_subb_u32 s5, s19, 0
	s_add_u32 s1, s28, 8
	s_addc_u32 s6, s29, 0
	s_add_u32 s26, s10, s26
	s_addc_u32 s7, s11, s27
	s_cmp_eq_u64 s[10:11], 0
	v_cndmask_b32_e32 v0, v0, v9, vcc_lo
	s_cselect_b32 s7, s6, s7
	s_cselect_b32 s6, s1, s26
	s_mul_i32 s27, s4, s23
	s_load_dwordx2 s[10:11], s[6:7], 0x0
	s_mul_hi_u32 s28, s4, s24
	v_cmp_eq_u32_e64 s1, 31, v3
	v_lshlrev_b32_e32 v16, 2, v8
	v_lshlrev_b32_e32 v17, 2, v0
	s_mul_i32 s29, s5, s24
	s_waitcnt lgkmcnt(0)
	s_sub_u32 s6, s10, s2
	s_subb_u32 s7, s11, 0
	s_cmp_lg_u32 s30, 0
	v_cmp_lt_i64_e64 s18, s[18:19], s[10:11]
	s_cselect_b32 s26, -1, 0
	s_cmp_lg_u32 s20, 0
	s_cselect_b32 s19, -1, 0
	s_add_i32 s10, s28, s27
	s_mul_i32 s28, s4, s24
	s_add_i32 s27, s10, s29
	s_lshl_b32 s29, s21, 5
	s_branch .LBB41_14
.LBB41_13:                              ;   in Loop: Header=BB41_14 Depth=1
	s_or_b32 exec_lo, exec_lo, s10
	v_add_nc_u32_e32 v1, 32, v1
	v_add_nc_u32_e32 v11, s29, v11
	v_cmp_le_i32_e32 vcc_lo, s21, v1
	s_or_b32 s22, vcc_lo, s22
	s_andn2_b32 exec_lo, exec_lo, s22
	s_cbranch_execz .LBB41_30
.LBB41_14:                              ; =>This Loop Header: Depth=1
                                        ;     Child Loop BB41_18 Depth 2
                                        ;       Child Loop BB41_21 Depth 3
	v_mov_b32_e32 v0, 0
	s_andn2_b32 vcc_lo, exec_lo, s18
	s_cbranch_vccnz .LBB41_25
; %bb.15:                               ;   in Loop: Header=BB41_14 Depth=1
	v_ashrrev_i32_e32 v0, 31, v11
	v_add_co_u32 v18, vcc_lo, s28, v11
	s_mov_b64 s[10:11], s[4:5]
	v_add_co_ci_u32_e64 v19, null, s27, v0, vcc_lo
	v_mov_b32_e32 v0, 0
	s_branch .LBB41_18
.LBB41_16:                              ;   in Loop: Header=BB41_18 Depth=2
	s_inst_prefetch 0x2
	s_or_b32 exec_lo, exec_lo, s31
.LBB41_17:                              ;   in Loop: Header=BB41_18 Depth=2
	s_or_b32 exec_lo, exec_lo, s30
	s_add_u32 s10, s10, 1
	s_addc_u32 s11, s11, 0
	v_add_co_u32 v18, vcc_lo, v18, s24
	v_cmp_ge_i64_e64 s30, s[10:11], s[6:7]
	v_add_co_ci_u32_e64 v19, null, s23, v19, vcc_lo
	s_and_b32 vcc_lo, exec_lo, s30
	s_cbranch_vccnz .LBB41_25
.LBB41_18:                              ;   Parent Loop BB41_14 Depth=1
                                        ; =>  This Loop Header: Depth=2
                                        ;       Child Loop BB41_21 Depth 3
	s_and_saveexec_b32 s30, s0
	s_cbranch_execz .LBB41_17
; %bb.19:                               ;   in Loop: Header=BB41_18 Depth=2
	s_lshl_b64 s[34:35], s[10:11], 2
	s_waitcnt lgkmcnt(0)
	v_mad_u64_u32 v[5:6], null, s24, s10, v[1:2]
	s_add_u32 s34, s12, s34
	s_addc_u32 s35, s13, s35
	s_mul_i32 s33, s23, s10
	s_load_dword s31, s[34:35], 0x0
	s_mul_i32 s34, s24, s11
	v_mov_b32_e32 v8, v4
	v_mov_b32_e32 v20, v12
	;; [unrolled: 1-line block ×3, first 2 shown]
	v_add3_u32 v6, s34, s33, v6
	s_waitcnt lgkmcnt(0)
	s_sub_i32 s31, s31, s2
	s_mul_i32 s33, s31, s21
	s_mov_b32 s31, 0
	s_inst_prefetch 0x1
	s_branch .LBB41_21
	.p2align	6
.LBB41_20:                              ;   in Loop: Header=BB41_21 Depth=3
	v_add_nc_u32_e32 v21, s33, v7
	v_add_co_u32 v9, vcc_lo, s14, v9
	v_add_co_ci_u32_e64 v10, null, s15, v10, vcc_lo
	v_ashrrev_i32_e32 v22, 31, v21
	v_add_co_u32 v21, vcc_lo, s16, v21
	v_add_nc_u32_e32 v20, s29, v20
	v_add_co_ci_u32_e64 v22, null, s17, v22, vcc_lo
	v_add_co_u32 v7, vcc_lo, v7, 32
	global_load_sbyte v9, v[9:10], off
	global_load_sbyte v10, v[21:22], off
	v_add_co_ci_u32_e64 v8, null, 0, v8, vcc_lo
	v_cmp_le_i32_e32 vcc_lo, s21, v7
	s_or_b32 s31, vcc_lo, s31
	s_waitcnt vmcnt(0)
	v_mad_i32_i24 v0, v10, v9, v0
	s_andn2_b32 exec_lo, exec_lo, s31
	s_cbranch_execz .LBB41_16
.LBB41_21:                              ;   Parent Loop BB41_14 Depth=1
                                        ;     Parent Loop BB41_18 Depth=2
                                        ; =>    This Inner Loop Header: Depth=3
	s_and_b32 vcc_lo, exec_lo, s26
	s_cbranch_vccz .LBB41_23
; %bb.22:                               ;   in Loop: Header=BB41_21 Depth=3
	v_ashrrev_i32_e32 v10, 31, v20
	v_add_co_u32 v9, vcc_lo, v5, v20
	v_add_co_ci_u32_e64 v10, null, v6, v10, vcc_lo
	s_cbranch_execnz .LBB41_20
	s_branch .LBB41_24
.LBB41_23:                              ;   in Loop: Header=BB41_21 Depth=3
                                        ; implicit-def: $vgpr9_vgpr10
.LBB41_24:                              ;   in Loop: Header=BB41_21 Depth=3
	v_add_co_u32 v9, vcc_lo, v18, v7
	v_add_co_ci_u32_e64 v10, null, v19, v8, vcc_lo
	s_branch .LBB41_20
.LBB41_25:                              ;   in Loop: Header=BB41_14 Depth=1
	s_waitcnt lgkmcnt(0)
	ds_bpermute_b32 v5, v13, v0
	s_waitcnt lgkmcnt(0)
	v_add_nc_u32_e32 v0, v5, v0
	ds_bpermute_b32 v5, v14, v0
	s_waitcnt lgkmcnt(0)
	v_add_nc_u32_e32 v0, v5, v0
	ds_bpermute_b32 v5, v15, v0
	s_waitcnt lgkmcnt(0)
	v_add_nc_u32_e32 v0, v5, v0
	ds_bpermute_b32 v5, v16, v0
	s_waitcnt lgkmcnt(0)
	v_add_nc_u32_e32 v0, v5, v0
	ds_bpermute_b32 v5, v17, v0
	s_and_saveexec_b32 s10, s1
	s_cbranch_execz .LBB41_13
; %bb.26:                               ;   in Loop: Header=BB41_14 Depth=1
	s_waitcnt lgkmcnt(0)
	v_add_nc_u32_e32 v0, v5, v0
	v_add_nc_u32_e32 v5, s25, v1
	s_andn2_b32 vcc_lo, exec_lo, s19
	v_mul_lo_u32 v0, v0, s3
	v_ashrrev_i32_e32 v6, 31, v5
	s_cbranch_vccnz .LBB41_28
; %bb.27:                               ;   in Loop: Header=BB41_14 Depth=1
	v_lshlrev_b64 v[7:8], 2, v[5:6]
	v_add_co_u32 v7, vcc_lo, s8, v7
	v_add_co_ci_u32_e64 v8, null, s9, v8, vcc_lo
	global_load_dword v9, v[7:8], off
	s_waitcnt vmcnt(0)
	v_mad_u64_u32 v[9:10], null, v9, s20, v[0:1]
	global_store_dword v[7:8], v9, off
	s_cbranch_execnz .LBB41_13
	s_branch .LBB41_29
.LBB41_28:                              ;   in Loop: Header=BB41_14 Depth=1
.LBB41_29:                              ;   in Loop: Header=BB41_14 Depth=1
	v_lshlrev_b64 v[5:6], 2, v[5:6]
	v_add_co_u32 v5, vcc_lo, s8, v5
	v_add_co_ci_u32_e64 v6, null, s9, v6, vcc_lo
	global_store_dword v[5:6], v0, off
	s_branch .LBB41_13
.LBB41_30:
	s_endpgm
	.section	.rodata,"a",@progbits
	.p2align	6, 0x0
	.amdhsa_kernel _ZN9rocsparseL22bsrxmvn_general_kernelILj1024ELj32EiliaaiEEv20rocsparse_direction_NS_24const_host_device_scalarIT1_EET3_PKS5_PKT2_SA_S7_PKT4_S5_PKT5_S4_PT6_21rocsparse_index_base_b
		.amdhsa_group_segment_fixed_size 0
		.amdhsa_private_segment_fixed_size 0
		.amdhsa_kernarg_size 104
		.amdhsa_user_sgpr_count 6
		.amdhsa_user_sgpr_private_segment_buffer 1
		.amdhsa_user_sgpr_dispatch_ptr 0
		.amdhsa_user_sgpr_queue_ptr 0
		.amdhsa_user_sgpr_kernarg_segment_ptr 1
		.amdhsa_user_sgpr_dispatch_id 0
		.amdhsa_user_sgpr_flat_scratch_init 0
		.amdhsa_user_sgpr_private_segment_size 0
		.amdhsa_wavefront_size32 1
		.amdhsa_uses_dynamic_stack 0
		.amdhsa_system_sgpr_private_segment_wavefront_offset 0
		.amdhsa_system_sgpr_workgroup_id_x 1
		.amdhsa_system_sgpr_workgroup_id_y 0
		.amdhsa_system_sgpr_workgroup_id_z 0
		.amdhsa_system_sgpr_workgroup_info 0
		.amdhsa_system_vgpr_workitem_id 0
		.amdhsa_next_free_vgpr 23
		.amdhsa_next_free_sgpr 36
		.amdhsa_reserve_vcc 1
		.amdhsa_reserve_flat_scratch 0
		.amdhsa_float_round_mode_32 0
		.amdhsa_float_round_mode_16_64 0
		.amdhsa_float_denorm_mode_32 3
		.amdhsa_float_denorm_mode_16_64 3
		.amdhsa_dx10_clamp 1
		.amdhsa_ieee_mode 1
		.amdhsa_fp16_overflow 0
		.amdhsa_workgroup_processor_mode 1
		.amdhsa_memory_ordered 1
		.amdhsa_forward_progress 1
		.amdhsa_shared_vgpr_count 0
		.amdhsa_exception_fp_ieee_invalid_op 0
		.amdhsa_exception_fp_denorm_src 0
		.amdhsa_exception_fp_ieee_div_zero 0
		.amdhsa_exception_fp_ieee_overflow 0
		.amdhsa_exception_fp_ieee_underflow 0
		.amdhsa_exception_fp_ieee_inexact 0
		.amdhsa_exception_int_div_zero 0
	.end_amdhsa_kernel
	.section	.text._ZN9rocsparseL22bsrxmvn_general_kernelILj1024ELj32EiliaaiEEv20rocsparse_direction_NS_24const_host_device_scalarIT1_EET3_PKS5_PKT2_SA_S7_PKT4_S5_PKT5_S4_PT6_21rocsparse_index_base_b,"axG",@progbits,_ZN9rocsparseL22bsrxmvn_general_kernelILj1024ELj32EiliaaiEEv20rocsparse_direction_NS_24const_host_device_scalarIT1_EET3_PKS5_PKT2_SA_S7_PKT4_S5_PKT5_S4_PT6_21rocsparse_index_base_b,comdat
.Lfunc_end41:
	.size	_ZN9rocsparseL22bsrxmvn_general_kernelILj1024ELj32EiliaaiEEv20rocsparse_direction_NS_24const_host_device_scalarIT1_EET3_PKS5_PKT2_SA_S7_PKT4_S5_PKT5_S4_PT6_21rocsparse_index_base_b, .Lfunc_end41-_ZN9rocsparseL22bsrxmvn_general_kernelILj1024ELj32EiliaaiEEv20rocsparse_direction_NS_24const_host_device_scalarIT1_EET3_PKS5_PKT2_SA_S7_PKT4_S5_PKT5_S4_PT6_21rocsparse_index_base_b
                                        ; -- End function
	.set _ZN9rocsparseL22bsrxmvn_general_kernelILj1024ELj32EiliaaiEEv20rocsparse_direction_NS_24const_host_device_scalarIT1_EET3_PKS5_PKT2_SA_S7_PKT4_S5_PKT5_S4_PT6_21rocsparse_index_base_b.num_vgpr, 23
	.set _ZN9rocsparseL22bsrxmvn_general_kernelILj1024ELj32EiliaaiEEv20rocsparse_direction_NS_24const_host_device_scalarIT1_EET3_PKS5_PKT2_SA_S7_PKT4_S5_PKT5_S4_PT6_21rocsparse_index_base_b.num_agpr, 0
	.set _ZN9rocsparseL22bsrxmvn_general_kernelILj1024ELj32EiliaaiEEv20rocsparse_direction_NS_24const_host_device_scalarIT1_EET3_PKS5_PKT2_SA_S7_PKT4_S5_PKT5_S4_PT6_21rocsparse_index_base_b.numbered_sgpr, 36
	.set _ZN9rocsparseL22bsrxmvn_general_kernelILj1024ELj32EiliaaiEEv20rocsparse_direction_NS_24const_host_device_scalarIT1_EET3_PKS5_PKT2_SA_S7_PKT4_S5_PKT5_S4_PT6_21rocsparse_index_base_b.num_named_barrier, 0
	.set _ZN9rocsparseL22bsrxmvn_general_kernelILj1024ELj32EiliaaiEEv20rocsparse_direction_NS_24const_host_device_scalarIT1_EET3_PKS5_PKT2_SA_S7_PKT4_S5_PKT5_S4_PT6_21rocsparse_index_base_b.private_seg_size, 0
	.set _ZN9rocsparseL22bsrxmvn_general_kernelILj1024ELj32EiliaaiEEv20rocsparse_direction_NS_24const_host_device_scalarIT1_EET3_PKS5_PKT2_SA_S7_PKT4_S5_PKT5_S4_PT6_21rocsparse_index_base_b.uses_vcc, 1
	.set _ZN9rocsparseL22bsrxmvn_general_kernelILj1024ELj32EiliaaiEEv20rocsparse_direction_NS_24const_host_device_scalarIT1_EET3_PKS5_PKT2_SA_S7_PKT4_S5_PKT5_S4_PT6_21rocsparse_index_base_b.uses_flat_scratch, 0
	.set _ZN9rocsparseL22bsrxmvn_general_kernelILj1024ELj32EiliaaiEEv20rocsparse_direction_NS_24const_host_device_scalarIT1_EET3_PKS5_PKT2_SA_S7_PKT4_S5_PKT5_S4_PT6_21rocsparse_index_base_b.has_dyn_sized_stack, 0
	.set _ZN9rocsparseL22bsrxmvn_general_kernelILj1024ELj32EiliaaiEEv20rocsparse_direction_NS_24const_host_device_scalarIT1_EET3_PKS5_PKT2_SA_S7_PKT4_S5_PKT5_S4_PT6_21rocsparse_index_base_b.has_recursion, 0
	.set _ZN9rocsparseL22bsrxmvn_general_kernelILj1024ELj32EiliaaiEEv20rocsparse_direction_NS_24const_host_device_scalarIT1_EET3_PKS5_PKT2_SA_S7_PKT4_S5_PKT5_S4_PT6_21rocsparse_index_base_b.has_indirect_call, 0
	.section	.AMDGPU.csdata,"",@progbits
; Kernel info:
; codeLenInByte = 1208
; TotalNumSgprs: 38
; NumVgprs: 23
; ScratchSize: 0
; MemoryBound: 0
; FloatMode: 240
; IeeeMode: 1
; LDSByteSize: 0 bytes/workgroup (compile time only)
; SGPRBlocks: 0
; VGPRBlocks: 2
; NumSGPRsForWavesPerEU: 38
; NumVGPRsForWavesPerEU: 23
; Occupancy: 16
; WaveLimiterHint : 1
; COMPUTE_PGM_RSRC2:SCRATCH_EN: 0
; COMPUTE_PGM_RSRC2:USER_SGPR: 6
; COMPUTE_PGM_RSRC2:TRAP_HANDLER: 0
; COMPUTE_PGM_RSRC2:TGID_X_EN: 1
; COMPUTE_PGM_RSRC2:TGID_Y_EN: 0
; COMPUTE_PGM_RSRC2:TGID_Z_EN: 0
; COMPUTE_PGM_RSRC2:TIDIG_COMP_CNT: 0
	.section	.text._ZN9rocsparseL22bsrxmvn_general_kernelILj64ELj8EillaaiEEv20rocsparse_direction_NS_24const_host_device_scalarIT1_EET3_PKS5_PKT2_SA_S7_PKT4_S5_PKT5_S4_PT6_21rocsparse_index_base_b,"axG",@progbits,_ZN9rocsparseL22bsrxmvn_general_kernelILj64ELj8EillaaiEEv20rocsparse_direction_NS_24const_host_device_scalarIT1_EET3_PKS5_PKT2_SA_S7_PKT4_S5_PKT5_S4_PT6_21rocsparse_index_base_b,comdat
	.globl	_ZN9rocsparseL22bsrxmvn_general_kernelILj64ELj8EillaaiEEv20rocsparse_direction_NS_24const_host_device_scalarIT1_EET3_PKS5_PKT2_SA_S7_PKT4_S5_PKT5_S4_PT6_21rocsparse_index_base_b ; -- Begin function _ZN9rocsparseL22bsrxmvn_general_kernelILj64ELj8EillaaiEEv20rocsparse_direction_NS_24const_host_device_scalarIT1_EET3_PKS5_PKT2_SA_S7_PKT4_S5_PKT5_S4_PT6_21rocsparse_index_base_b
	.p2align	8
	.type	_ZN9rocsparseL22bsrxmvn_general_kernelILj64ELj8EillaaiEEv20rocsparse_direction_NS_24const_host_device_scalarIT1_EET3_PKS5_PKT2_SA_S7_PKT4_S5_PKT5_S4_PT6_21rocsparse_index_base_b,@function
_ZN9rocsparseL22bsrxmvn_general_kernelILj64ELj8EillaaiEEv20rocsparse_direction_NS_24const_host_device_scalarIT1_EET3_PKS5_PKT2_SA_S7_PKT4_S5_PKT5_S4_PT6_21rocsparse_index_base_b: ; @_ZN9rocsparseL22bsrxmvn_general_kernelILj64ELj8EillaaiEEv20rocsparse_direction_NS_24const_host_device_scalarIT1_EET3_PKS5_PKT2_SA_S7_PKT4_S5_PKT5_S4_PT6_21rocsparse_index_base_b
; %bb.0:
	s_clause 0x1
	s_load_dwordx2 s[16:17], s[4:5], 0x60
	s_load_dwordx2 s[2:3], s[4:5], 0x8
	s_mov_b32 s8, -1
	s_waitcnt lgkmcnt(0)
	s_bitcmp1_b32 s17, 0
                                        ; implicit-def: $sgpr17
	s_cselect_b32 s0, -1, 0
	s_xor_b32 s7, s0, -1
	s_and_b32 vcc_lo, exec_lo, s7
	s_cbranch_vccnz .LBB42_4
; %bb.1:
	s_load_dwordx2 s[0:1], s[4:5], 0x50
	s_andn2_b32 vcc_lo, exec_lo, s8
	s_cbranch_vccz .LBB42_5
.LBB42_2:
	s_and_b32 vcc_lo, exec_lo, s7
	s_cbranch_vccz .LBB42_6
.LBB42_3:
	s_waitcnt lgkmcnt(0)
	s_load_dword s22, s[0:1], 0x0
	s_cbranch_execz .LBB42_7
	s_branch .LBB42_8
.LBB42_4:
	s_load_dword s17, s[2:3], 0x0
	s_load_dwordx2 s[0:1], s[4:5], 0x50
	s_cbranch_execnz .LBB42_2
.LBB42_5:
	s_waitcnt lgkmcnt(0)
	s_mov_b32 s17, s2
	s_and_b32 vcc_lo, exec_lo, s7
	s_cbranch_vccnz .LBB42_3
.LBB42_6:
	s_waitcnt lgkmcnt(0)
                                        ; implicit-def: $sgpr22
.LBB42_7:
	s_waitcnt lgkmcnt(0)
	s_mov_b32 s22, s0
.LBB42_8:
	s_cmp_lg_u32 s17, 0
	s_mov_b32 s7, 0
	s_cselect_b32 s0, -1, 0
	s_waitcnt lgkmcnt(0)
	s_cmp_lg_u32 s22, 1
	s_cselect_b32 s1, -1, 0
	s_or_b32 s0, s0, s1
	s_andn2_b32 vcc_lo, exec_lo, s0
	s_cbranch_vccnz .LBB42_30
; %bb.9:
	s_load_dwordx2 s[0:1], s[4:5], 0x18
	s_waitcnt lgkmcnt(0)
	s_cmp_eq_u64 s[0:1], 0
	s_cbranch_scc1 .LBB42_11
; %bb.10:
	s_lshl_b64 s[2:3], s[6:7], 3
	s_add_u32 s0, s0, s2
	s_addc_u32 s1, s1, s3
	s_load_dwordx2 s[0:1], s[0:1], 0x0
	s_waitcnt lgkmcnt(0)
	s_sub_u32 s6, s0, s16
	s_subb_u32 s7, s1, 0
.LBB42_11:
	s_load_dwordx2 s[18:19], s[4:5], 0x40
	v_lshrrev_b32_e32 v1, 3, v0
	v_mov_b32_e32 v2, 0
	s_mov_b32 s0, exec_lo
	s_waitcnt lgkmcnt(0)
	v_cmpx_gt_i64_e64 s[18:19], v[1:2]
	s_cbranch_execz .LBB42_30
; %bb.12:
	s_load_dwordx8 s[8:15], s[4:5], 0x20
	s_lshl_b64 s[0:1], s[6:7], 3
	s_load_dword s27, s[4:5], 0x0
	s_mul_i32 s28, s6, s19
	s_mul_hi_u32 s29, s6, s18
	s_mul_i32 s26, s6, s18
	s_mul_i32 s30, s7, s18
	v_and_b32_e32 v3, 7, v0
	v_mbcnt_lo_u32_b32 v0, -1, 0
	v_mov_b32_e32 v4, v2
	s_mul_i32 s31, s18, s19
	s_mul_hi_u32 s33, s18, s18
	s_mov_b32 s23, 0
	v_xor_b32_e32 v7, 4, v0
	v_xor_b32_e32 v8, 2, v0
	;; [unrolled: 1-line block ×3, first 2 shown]
	v_cmp_gt_i32_e32 vcc_lo, 32, v7
	s_waitcnt lgkmcnt(0)
	s_add_u32 s24, s8, s0
	s_addc_u32 s25, s9, s1
	s_load_dwordx2 s[20:21], s[24:25], 0x0
	s_clause 0x1
	s_load_dwordx2 s[2:3], s[4:5], 0x58
	s_load_dwordx2 s[8:9], s[4:5], 0x48
	v_cndmask_b32_e32 v7, v0, v7, vcc_lo
	v_cmp_gt_i32_e32 vcc_lo, 32, v8
	v_lshlrev_b32_e32 v13, 2, v7
	v_cndmask_b32_e32 v8, v0, v8, vcc_lo
	v_cmp_gt_i32_e32 vcc_lo, 32, v9
	v_lshlrev_b32_e32 v14, 2, v8
	v_cndmask_b32_e32 v0, v0, v9, vcc_lo
	v_lshlrev_b32_e32 v15, 2, v0
	s_waitcnt lgkmcnt(0)
	s_sub_u32 s4, s20, s16
	s_subb_u32 s5, s21, 0
	s_add_u32 s6, s24, 8
	s_addc_u32 s7, s25, 0
	s_add_u32 s24, s10, s0
	s_addc_u32 s1, s11, s1
	s_cmp_eq_u64 s[10:11], 0
	v_mad_u64_u32 v[5:6], null, s18, s4, v[1:2]
	s_cselect_b32 s7, s7, s1
	s_cselect_b32 s6, s6, s24
	v_cmp_gt_u64_e64 s0, s[18:19], v[3:4]
	s_load_dwordx2 s[10:11], s[6:7], 0x0
	s_mul_i32 s6, s19, s4
	s_mul_i32 s7, s18, s5
	v_mul_lo_u32 v7, s19, v5
	v_add3_u32 v9, s7, s6, v6
	v_mad_u64_u32 v[5:6], null, s18, v5, 0
	v_cmp_eq_u32_e64 s1, 7, v3
	v_mul_lo_u32 v9, s18, v9
	v_add3_u32 v6, v6, v9, v7
	s_waitcnt lgkmcnt(0)
	s_sub_u32 s6, s10, s16
	s_subb_u32 s7, s11, 0
	s_cmp_lg_u32 s27, 0
	v_cmp_lt_i64_e64 s20, s[20:21], s[10:11]
	s_cselect_b32 s24, -1, 0
	s_cmp_lg_u32 s22, 0
	s_cselect_b32 s25, -1, 0
	s_add_i32 s27, s29, s28
	s_mul_i32 s28, s18, s18
	s_add_i32 s27, s27, s30
	s_lshl_b64 s[10:11], s[26:27], 2
	s_add_u32 s21, s2, s10
	s_addc_u32 s26, s3, s11
	s_add_i32 s2, s33, s31
	s_lshl_b64 s[10:11], s[18:19], 3
	s_add_i32 s27, s2, s31
	s_branch .LBB42_14
.LBB42_13:                              ;   in Loop: Header=BB42_14 Depth=1
	s_or_b32 exec_lo, exec_lo, s2
	v_add_co_u32 v1, vcc_lo, v1, 8
	v_add_co_ci_u32_e64 v2, null, 0, v2, vcc_lo
	v_add_co_u32 v5, s2, v5, s10
	v_add_co_ci_u32_e64 v6, null, s11, v6, s2
	v_cmp_le_i64_e32 vcc_lo, s[18:19], v[1:2]
	s_or_b32 s23, vcc_lo, s23
	s_andn2_b32 exec_lo, exec_lo, s23
	s_cbranch_execz .LBB42_30
.LBB42_14:                              ; =>This Loop Header: Depth=1
                                        ;     Child Loop BB42_18 Depth 2
                                        ;       Child Loop BB42_21 Depth 3
	v_mov_b32_e32 v0, 0
	s_andn2_b32 vcc_lo, exec_lo, s20
	s_cbranch_vccnz .LBB42_25
; %bb.15:                               ;   in Loop: Header=BB42_14 Depth=1
	s_waitcnt lgkmcnt(0)
	v_mov_b32_e32 v8, v6
	v_mov_b32_e32 v0, 0
	;; [unrolled: 1-line block ×3, first 2 shown]
	s_mov_b64 s[2:3], s[4:5]
	s_branch .LBB42_18
.LBB42_16:                              ;   in Loop: Header=BB42_18 Depth=2
	s_inst_prefetch 0x2
	s_or_b32 exec_lo, exec_lo, s34
.LBB42_17:                              ;   in Loop: Header=BB42_18 Depth=2
	s_or_b32 exec_lo, exec_lo, s29
	s_add_u32 s2, s2, 1
	s_addc_u32 s3, s3, 0
	v_add_co_u32 v7, vcc_lo, v7, s28
	v_cmp_ge_i64_e64 s29, s[2:3], s[6:7]
	v_add_co_ci_u32_e64 v8, null, s27, v8, vcc_lo
	s_and_b32 vcc_lo, exec_lo, s29
	s_cbranch_vccnz .LBB42_25
.LBB42_18:                              ;   Parent Loop BB42_14 Depth=1
                                        ; =>  This Loop Header: Depth=2
                                        ;       Child Loop BB42_21 Depth 3
	s_and_saveexec_b32 s29, s0
	s_cbranch_execz .LBB42_17
; %bb.19:                               ;   in Loop: Header=BB42_18 Depth=2
	s_lshl_b64 s[30:31], s[2:3], 3
	s_mul_hi_u32 s33, s2, s18
	s_add_u32 s30, s12, s30
	s_addc_u32 s31, s13, s31
	s_mul_i32 s36, s3, s18
	s_load_dwordx2 s[34:35], s[30:31], 0x0
	s_mul_i32 s31, s2, s19
	v_mov_b32_e32 v10, v4
	v_mov_b32_e32 v9, v3
	s_mul_i32 s30, s2, s18
	s_waitcnt lgkmcnt(0)
	s_sub_u32 s34, s34, s16
	s_subb_u32 s35, s35, 0
	s_add_i32 s31, s33, s31
	s_mul_i32 s33, s34, s19
	s_mul_hi_u32 s37, s34, s18
	s_mul_i32 s35, s35, s18
	s_add_i32 s33, s37, s33
	s_mul_i32 s34, s34, s18
	s_add_i32 s31, s31, s36
	s_add_i32 s35, s33, s35
	s_add_u32 s33, s8, s34
	s_addc_u32 s35, s9, s35
	s_mov_b32 s34, 0
	s_inst_prefetch 0x1
	s_branch .LBB42_21
	.p2align	6
.LBB42_20:                              ;   in Loop: Header=BB42_21 Depth=3
	v_add_co_u32 v11, vcc_lo, s14, v11
	v_add_co_ci_u32_e64 v12, null, s15, v12, vcc_lo
	v_add_co_u32 v16, vcc_lo, s33, v9
	v_add_co_ci_u32_e64 v17, null, s35, v10, vcc_lo
	global_load_sbyte v11, v[11:12], off
	global_load_sbyte v12, v[16:17], off
	v_add_co_u32 v9, vcc_lo, v9, 8
	v_add_co_ci_u32_e64 v10, null, 0, v10, vcc_lo
	v_cmp_le_i64_e32 vcc_lo, s[18:19], v[9:10]
	s_or_b32 s34, vcc_lo, s34
	s_waitcnt vmcnt(0)
	v_mad_i32_i24 v0, v12, v11, v0
	s_andn2_b32 exec_lo, exec_lo, s34
	s_cbranch_execz .LBB42_16
.LBB42_21:                              ;   Parent Loop BB42_14 Depth=1
                                        ;     Parent Loop BB42_18 Depth=2
                                        ; =>    This Inner Loop Header: Depth=3
	s_and_b32 vcc_lo, exec_lo, s24
	s_cbranch_vccz .LBB42_23
; %bb.22:                               ;   in Loop: Header=BB42_21 Depth=3
	v_add_co_u32 v11, vcc_lo, v9, s30
	v_add_co_ci_u32_e64 v12, null, s31, v10, vcc_lo
	v_mul_lo_u32 v16, v11, s19
	v_mul_lo_u32 v17, v12, s18
	v_mad_u64_u32 v[11:12], null, v11, s18, v[1:2]
	v_add3_u32 v12, v17, v12, v16
	s_cbranch_execnz .LBB42_20
	s_branch .LBB42_24
.LBB42_23:                              ;   in Loop: Header=BB42_21 Depth=3
                                        ; implicit-def: $vgpr11_vgpr12
.LBB42_24:                              ;   in Loop: Header=BB42_21 Depth=3
	v_add_co_u32 v11, vcc_lo, v7, v9
	v_add_co_ci_u32_e64 v12, null, v8, v10, vcc_lo
	s_branch .LBB42_20
.LBB42_25:                              ;   in Loop: Header=BB42_14 Depth=1
	s_waitcnt lgkmcnt(0)
	ds_bpermute_b32 v7, v13, v0
	s_waitcnt lgkmcnt(0)
	v_add_nc_u32_e32 v0, v7, v0
	ds_bpermute_b32 v7, v14, v0
	s_waitcnt lgkmcnt(0)
	v_add_nc_u32_e32 v0, v7, v0
	ds_bpermute_b32 v7, v15, v0
	s_and_saveexec_b32 s2, s1
	s_cbranch_execz .LBB42_13
; %bb.26:                               ;   in Loop: Header=BB42_14 Depth=1
	s_waitcnt lgkmcnt(0)
	v_add_nc_u32_e32 v0, v7, v0
	v_lshlrev_b64 v[7:8], 2, v[1:2]
	s_andn2_b32 vcc_lo, exec_lo, s25
	v_mul_lo_u32 v0, v0, s17
	s_cbranch_vccnz .LBB42_28
; %bb.27:                               ;   in Loop: Header=BB42_14 Depth=1
	v_add_co_u32 v9, vcc_lo, s21, v7
	v_add_co_ci_u32_e64 v10, null, s26, v8, vcc_lo
	global_load_dword v11, v[9:10], off
	s_waitcnt vmcnt(0)
	v_mad_u64_u32 v[11:12], null, v11, s22, v[0:1]
	global_store_dword v[9:10], v11, off
	s_cbranch_execnz .LBB42_13
	s_branch .LBB42_29
.LBB42_28:                              ;   in Loop: Header=BB42_14 Depth=1
.LBB42_29:                              ;   in Loop: Header=BB42_14 Depth=1
	v_add_co_u32 v7, vcc_lo, s21, v7
	v_add_co_ci_u32_e64 v8, null, s26, v8, vcc_lo
	global_store_dword v[7:8], v0, off
	s_branch .LBB42_13
.LBB42_30:
	s_endpgm
	.section	.rodata,"a",@progbits
	.p2align	6, 0x0
	.amdhsa_kernel _ZN9rocsparseL22bsrxmvn_general_kernelILj64ELj8EillaaiEEv20rocsparse_direction_NS_24const_host_device_scalarIT1_EET3_PKS5_PKT2_SA_S7_PKT4_S5_PKT5_S4_PT6_21rocsparse_index_base_b
		.amdhsa_group_segment_fixed_size 0
		.amdhsa_private_segment_fixed_size 0
		.amdhsa_kernarg_size 104
		.amdhsa_user_sgpr_count 6
		.amdhsa_user_sgpr_private_segment_buffer 1
		.amdhsa_user_sgpr_dispatch_ptr 0
		.amdhsa_user_sgpr_queue_ptr 0
		.amdhsa_user_sgpr_kernarg_segment_ptr 1
		.amdhsa_user_sgpr_dispatch_id 0
		.amdhsa_user_sgpr_flat_scratch_init 0
		.amdhsa_user_sgpr_private_segment_size 0
		.amdhsa_wavefront_size32 1
		.amdhsa_uses_dynamic_stack 0
		.amdhsa_system_sgpr_private_segment_wavefront_offset 0
		.amdhsa_system_sgpr_workgroup_id_x 1
		.amdhsa_system_sgpr_workgroup_id_y 0
		.amdhsa_system_sgpr_workgroup_id_z 0
		.amdhsa_system_sgpr_workgroup_info 0
		.amdhsa_system_vgpr_workitem_id 0
		.amdhsa_next_free_vgpr 18
		.amdhsa_next_free_sgpr 38
		.amdhsa_reserve_vcc 1
		.amdhsa_reserve_flat_scratch 0
		.amdhsa_float_round_mode_32 0
		.amdhsa_float_round_mode_16_64 0
		.amdhsa_float_denorm_mode_32 3
		.amdhsa_float_denorm_mode_16_64 3
		.amdhsa_dx10_clamp 1
		.amdhsa_ieee_mode 1
		.amdhsa_fp16_overflow 0
		.amdhsa_workgroup_processor_mode 1
		.amdhsa_memory_ordered 1
		.amdhsa_forward_progress 1
		.amdhsa_shared_vgpr_count 0
		.amdhsa_exception_fp_ieee_invalid_op 0
		.amdhsa_exception_fp_denorm_src 0
		.amdhsa_exception_fp_ieee_div_zero 0
		.amdhsa_exception_fp_ieee_overflow 0
		.amdhsa_exception_fp_ieee_underflow 0
		.amdhsa_exception_fp_ieee_inexact 0
		.amdhsa_exception_int_div_zero 0
	.end_amdhsa_kernel
	.section	.text._ZN9rocsparseL22bsrxmvn_general_kernelILj64ELj8EillaaiEEv20rocsparse_direction_NS_24const_host_device_scalarIT1_EET3_PKS5_PKT2_SA_S7_PKT4_S5_PKT5_S4_PT6_21rocsparse_index_base_b,"axG",@progbits,_ZN9rocsparseL22bsrxmvn_general_kernelILj64ELj8EillaaiEEv20rocsparse_direction_NS_24const_host_device_scalarIT1_EET3_PKS5_PKT2_SA_S7_PKT4_S5_PKT5_S4_PT6_21rocsparse_index_base_b,comdat
.Lfunc_end42:
	.size	_ZN9rocsparseL22bsrxmvn_general_kernelILj64ELj8EillaaiEEv20rocsparse_direction_NS_24const_host_device_scalarIT1_EET3_PKS5_PKT2_SA_S7_PKT4_S5_PKT5_S4_PT6_21rocsparse_index_base_b, .Lfunc_end42-_ZN9rocsparseL22bsrxmvn_general_kernelILj64ELj8EillaaiEEv20rocsparse_direction_NS_24const_host_device_scalarIT1_EET3_PKS5_PKT2_SA_S7_PKT4_S5_PKT5_S4_PT6_21rocsparse_index_base_b
                                        ; -- End function
	.set _ZN9rocsparseL22bsrxmvn_general_kernelILj64ELj8EillaaiEEv20rocsparse_direction_NS_24const_host_device_scalarIT1_EET3_PKS5_PKT2_SA_S7_PKT4_S5_PKT5_S4_PT6_21rocsparse_index_base_b.num_vgpr, 18
	.set _ZN9rocsparseL22bsrxmvn_general_kernelILj64ELj8EillaaiEEv20rocsparse_direction_NS_24const_host_device_scalarIT1_EET3_PKS5_PKT2_SA_S7_PKT4_S5_PKT5_S4_PT6_21rocsparse_index_base_b.num_agpr, 0
	.set _ZN9rocsparseL22bsrxmvn_general_kernelILj64ELj8EillaaiEEv20rocsparse_direction_NS_24const_host_device_scalarIT1_EET3_PKS5_PKT2_SA_S7_PKT4_S5_PKT5_S4_PT6_21rocsparse_index_base_b.numbered_sgpr, 38
	.set _ZN9rocsparseL22bsrxmvn_general_kernelILj64ELj8EillaaiEEv20rocsparse_direction_NS_24const_host_device_scalarIT1_EET3_PKS5_PKT2_SA_S7_PKT4_S5_PKT5_S4_PT6_21rocsparse_index_base_b.num_named_barrier, 0
	.set _ZN9rocsparseL22bsrxmvn_general_kernelILj64ELj8EillaaiEEv20rocsparse_direction_NS_24const_host_device_scalarIT1_EET3_PKS5_PKT2_SA_S7_PKT4_S5_PKT5_S4_PT6_21rocsparse_index_base_b.private_seg_size, 0
	.set _ZN9rocsparseL22bsrxmvn_general_kernelILj64ELj8EillaaiEEv20rocsparse_direction_NS_24const_host_device_scalarIT1_EET3_PKS5_PKT2_SA_S7_PKT4_S5_PKT5_S4_PT6_21rocsparse_index_base_b.uses_vcc, 1
	.set _ZN9rocsparseL22bsrxmvn_general_kernelILj64ELj8EillaaiEEv20rocsparse_direction_NS_24const_host_device_scalarIT1_EET3_PKS5_PKT2_SA_S7_PKT4_S5_PKT5_S4_PT6_21rocsparse_index_base_b.uses_flat_scratch, 0
	.set _ZN9rocsparseL22bsrxmvn_general_kernelILj64ELj8EillaaiEEv20rocsparse_direction_NS_24const_host_device_scalarIT1_EET3_PKS5_PKT2_SA_S7_PKT4_S5_PKT5_S4_PT6_21rocsparse_index_base_b.has_dyn_sized_stack, 0
	.set _ZN9rocsparseL22bsrxmvn_general_kernelILj64ELj8EillaaiEEv20rocsparse_direction_NS_24const_host_device_scalarIT1_EET3_PKS5_PKT2_SA_S7_PKT4_S5_PKT5_S4_PT6_21rocsparse_index_base_b.has_recursion, 0
	.set _ZN9rocsparseL22bsrxmvn_general_kernelILj64ELj8EillaaiEEv20rocsparse_direction_NS_24const_host_device_scalarIT1_EET3_PKS5_PKT2_SA_S7_PKT4_S5_PKT5_S4_PT6_21rocsparse_index_base_b.has_indirect_call, 0
	.section	.AMDGPU.csdata,"",@progbits
; Kernel info:
; codeLenInByte = 1240
; TotalNumSgprs: 40
; NumVgprs: 18
; ScratchSize: 0
; MemoryBound: 0
; FloatMode: 240
; IeeeMode: 1
; LDSByteSize: 0 bytes/workgroup (compile time only)
; SGPRBlocks: 0
; VGPRBlocks: 2
; NumSGPRsForWavesPerEU: 40
; NumVGPRsForWavesPerEU: 18
; Occupancy: 16
; WaveLimiterHint : 1
; COMPUTE_PGM_RSRC2:SCRATCH_EN: 0
; COMPUTE_PGM_RSRC2:USER_SGPR: 6
; COMPUTE_PGM_RSRC2:TRAP_HANDLER: 0
; COMPUTE_PGM_RSRC2:TGID_X_EN: 1
; COMPUTE_PGM_RSRC2:TGID_Y_EN: 0
; COMPUTE_PGM_RSRC2:TGID_Z_EN: 0
; COMPUTE_PGM_RSRC2:TIDIG_COMP_CNT: 0
	.section	.text._ZN9rocsparseL22bsrxmvn_general_kernelILj256ELj16EillaaiEEv20rocsparse_direction_NS_24const_host_device_scalarIT1_EET3_PKS5_PKT2_SA_S7_PKT4_S5_PKT5_S4_PT6_21rocsparse_index_base_b,"axG",@progbits,_ZN9rocsparseL22bsrxmvn_general_kernelILj256ELj16EillaaiEEv20rocsparse_direction_NS_24const_host_device_scalarIT1_EET3_PKS5_PKT2_SA_S7_PKT4_S5_PKT5_S4_PT6_21rocsparse_index_base_b,comdat
	.globl	_ZN9rocsparseL22bsrxmvn_general_kernelILj256ELj16EillaaiEEv20rocsparse_direction_NS_24const_host_device_scalarIT1_EET3_PKS5_PKT2_SA_S7_PKT4_S5_PKT5_S4_PT6_21rocsparse_index_base_b ; -- Begin function _ZN9rocsparseL22bsrxmvn_general_kernelILj256ELj16EillaaiEEv20rocsparse_direction_NS_24const_host_device_scalarIT1_EET3_PKS5_PKT2_SA_S7_PKT4_S5_PKT5_S4_PT6_21rocsparse_index_base_b
	.p2align	8
	.type	_ZN9rocsparseL22bsrxmvn_general_kernelILj256ELj16EillaaiEEv20rocsparse_direction_NS_24const_host_device_scalarIT1_EET3_PKS5_PKT2_SA_S7_PKT4_S5_PKT5_S4_PT6_21rocsparse_index_base_b,@function
_ZN9rocsparseL22bsrxmvn_general_kernelILj256ELj16EillaaiEEv20rocsparse_direction_NS_24const_host_device_scalarIT1_EET3_PKS5_PKT2_SA_S7_PKT4_S5_PKT5_S4_PT6_21rocsparse_index_base_b: ; @_ZN9rocsparseL22bsrxmvn_general_kernelILj256ELj16EillaaiEEv20rocsparse_direction_NS_24const_host_device_scalarIT1_EET3_PKS5_PKT2_SA_S7_PKT4_S5_PKT5_S4_PT6_21rocsparse_index_base_b
; %bb.0:
	s_clause 0x1
	s_load_dwordx2 s[16:17], s[4:5], 0x60
	s_load_dwordx2 s[2:3], s[4:5], 0x8
	s_mov_b32 s8, -1
	s_waitcnt lgkmcnt(0)
	s_bitcmp1_b32 s17, 0
                                        ; implicit-def: $sgpr17
	s_cselect_b32 s0, -1, 0
	s_xor_b32 s7, s0, -1
	s_and_b32 vcc_lo, exec_lo, s7
	s_cbranch_vccnz .LBB43_4
; %bb.1:
	s_load_dwordx2 s[0:1], s[4:5], 0x50
	s_andn2_b32 vcc_lo, exec_lo, s8
	s_cbranch_vccz .LBB43_5
.LBB43_2:
	s_and_b32 vcc_lo, exec_lo, s7
	s_cbranch_vccz .LBB43_6
.LBB43_3:
	s_waitcnt lgkmcnt(0)
	s_load_dword s22, s[0:1], 0x0
	s_cbranch_execz .LBB43_7
	s_branch .LBB43_8
.LBB43_4:
	s_load_dword s17, s[2:3], 0x0
	s_load_dwordx2 s[0:1], s[4:5], 0x50
	s_cbranch_execnz .LBB43_2
.LBB43_5:
	s_waitcnt lgkmcnt(0)
	s_mov_b32 s17, s2
	s_and_b32 vcc_lo, exec_lo, s7
	s_cbranch_vccnz .LBB43_3
.LBB43_6:
	s_waitcnt lgkmcnt(0)
                                        ; implicit-def: $sgpr22
.LBB43_7:
	s_waitcnt lgkmcnt(0)
	s_mov_b32 s22, s0
.LBB43_8:
	s_cmp_lg_u32 s17, 0
	s_mov_b32 s7, 0
	s_cselect_b32 s0, -1, 0
	s_waitcnt lgkmcnt(0)
	s_cmp_lg_u32 s22, 1
	s_cselect_b32 s1, -1, 0
	s_or_b32 s0, s0, s1
	s_andn2_b32 vcc_lo, exec_lo, s0
	s_cbranch_vccnz .LBB43_30
; %bb.9:
	s_load_dwordx2 s[0:1], s[4:5], 0x18
	s_waitcnt lgkmcnt(0)
	s_cmp_eq_u64 s[0:1], 0
	s_cbranch_scc1 .LBB43_11
; %bb.10:
	s_lshl_b64 s[2:3], s[6:7], 3
	s_add_u32 s0, s0, s2
	s_addc_u32 s1, s1, s3
	s_load_dwordx2 s[0:1], s[0:1], 0x0
	s_waitcnt lgkmcnt(0)
	s_sub_u32 s6, s0, s16
	s_subb_u32 s7, s1, 0
.LBB43_11:
	s_load_dwordx2 s[18:19], s[4:5], 0x40
	v_lshrrev_b32_e32 v1, 4, v0
	v_mov_b32_e32 v2, 0
	s_mov_b32 s0, exec_lo
	s_waitcnt lgkmcnt(0)
	v_cmpx_gt_i64_e64 s[18:19], v[1:2]
	s_cbranch_execz .LBB43_30
; %bb.12:
	s_load_dwordx8 s[8:15], s[4:5], 0x20
	s_lshl_b64 s[24:25], s[6:7], 3
	v_and_b32_e32 v3, 15, v0
	v_mbcnt_lo_u32_b32 v0, -1, 0
	s_load_dword s29, s[4:5], 0x0
	s_mul_i32 s30, s6, s19
	s_mul_hi_u32 s31, s6, s18
	s_mul_i32 s28, s6, s18
	v_xor_b32_e32 v5, 8, v0
	s_mul_i32 s33, s7, s18
	v_xor_b32_e32 v6, 4, v0
	v_xor_b32_e32 v7, 2, v0
	;; [unrolled: 1-line block ×3, first 2 shown]
	v_cmp_gt_i32_e32 vcc_lo, 32, v5
	v_mov_b32_e32 v4, v2
	s_mul_i32 s34, s18, s19
	s_mul_hi_u32 s35, s18, s18
	s_mov_b32 s23, 0
	v_cndmask_b32_e32 v9, v0, v5, vcc_lo
	v_cmp_gt_i32_e32 vcc_lo, 32, v6
	s_waitcnt lgkmcnt(0)
	s_add_u32 s26, s8, s24
	s_addc_u32 s27, s9, s25
	v_cmp_gt_u64_e64 s0, s[18:19], v[3:4]
	s_load_dwordx2 s[20:21], s[26:27], 0x0
	s_clause 0x1
	s_load_dwordx2 s[2:3], s[4:5], 0x58
	s_load_dwordx2 s[8:9], s[4:5], 0x48
	v_cndmask_b32_e32 v10, v0, v6, vcc_lo
	v_cmp_gt_i32_e32 vcc_lo, 32, v7
	v_lshlrev_b32_e32 v13, 2, v9
	v_lshlrev_b32_e32 v14, 2, v10
	v_cndmask_b32_e32 v7, v0, v7, vcc_lo
	v_cmp_gt_i32_e32 vcc_lo, 32, v8
	v_lshlrev_b32_e32 v15, 2, v7
	v_cndmask_b32_e32 v0, v0, v8, vcc_lo
	v_lshlrev_b32_e32 v16, 2, v0
	s_waitcnt lgkmcnt(0)
	s_sub_u32 s4, s20, s16
	s_subb_u32 s5, s21, 0
	s_add_u32 s1, s26, 8
	s_addc_u32 s6, s27, 0
	s_add_u32 s24, s10, s24
	s_addc_u32 s7, s11, s25
	s_cmp_eq_u64 s[10:11], 0
	v_mad_u64_u32 v[5:6], null, s18, s4, v[1:2]
	s_cselect_b32 s7, s6, s7
	s_cselect_b32 s6, s1, s24
	v_cmp_eq_u32_e64 s1, 15, v3
	s_load_dwordx2 s[10:11], s[6:7], 0x0
	s_mul_i32 s6, s19, s4
	s_mul_i32 s7, s18, s5
	v_mul_lo_u32 v9, s19, v5
	v_add3_u32 v8, s7, s6, v6
	v_mad_u64_u32 v[5:6], null, s18, v5, 0
	v_mul_lo_u32 v8, s18, v8
	v_add3_u32 v6, v6, v8, v9
	s_waitcnt lgkmcnt(0)
	s_sub_u32 s6, s10, s16
	s_subb_u32 s7, s11, 0
	s_cmp_lg_u32 s29, 0
	v_cmp_lt_i64_e64 s20, s[20:21], s[10:11]
	s_cselect_b32 s24, -1, 0
	s_cmp_lg_u32 s22, 0
	s_cselect_b32 s25, -1, 0
	s_add_i32 s26, s31, s30
	s_add_i32 s29, s26, s33
	s_lshl_b64 s[26:27], s[28:29], 2
	s_mul_i32 s28, s18, s18
	s_add_u32 s21, s2, s26
	s_addc_u32 s26, s3, s27
	s_add_i32 s2, s35, s34
	s_lshl_b64 s[10:11], s[18:19], 4
	s_add_i32 s27, s2, s34
	s_branch .LBB43_14
.LBB43_13:                              ;   in Loop: Header=BB43_14 Depth=1
	s_or_b32 exec_lo, exec_lo, s2
	v_add_co_u32 v1, vcc_lo, v1, 16
	v_add_co_ci_u32_e64 v2, null, 0, v2, vcc_lo
	v_add_co_u32 v5, s2, v5, s10
	v_add_co_ci_u32_e64 v6, null, s11, v6, s2
	v_cmp_le_i64_e32 vcc_lo, s[18:19], v[1:2]
	s_or_b32 s23, vcc_lo, s23
	s_andn2_b32 exec_lo, exec_lo, s23
	s_cbranch_execz .LBB43_30
.LBB43_14:                              ; =>This Loop Header: Depth=1
                                        ;     Child Loop BB43_18 Depth 2
                                        ;       Child Loop BB43_21 Depth 3
	v_mov_b32_e32 v0, 0
	s_andn2_b32 vcc_lo, exec_lo, s20
	s_cbranch_vccnz .LBB43_25
; %bb.15:                               ;   in Loop: Header=BB43_14 Depth=1
	s_waitcnt lgkmcnt(0)
	v_mov_b32_e32 v8, v6
	v_mov_b32_e32 v0, 0
	;; [unrolled: 1-line block ×3, first 2 shown]
	s_mov_b64 s[2:3], s[4:5]
	s_branch .LBB43_18
.LBB43_16:                              ;   in Loop: Header=BB43_18 Depth=2
	s_inst_prefetch 0x2
	s_or_b32 exec_lo, exec_lo, s34
.LBB43_17:                              ;   in Loop: Header=BB43_18 Depth=2
	s_or_b32 exec_lo, exec_lo, s29
	s_add_u32 s2, s2, 1
	s_addc_u32 s3, s3, 0
	v_add_co_u32 v7, vcc_lo, v7, s28
	v_cmp_ge_i64_e64 s29, s[2:3], s[6:7]
	v_add_co_ci_u32_e64 v8, null, s27, v8, vcc_lo
	s_and_b32 vcc_lo, exec_lo, s29
	s_cbranch_vccnz .LBB43_25
.LBB43_18:                              ;   Parent Loop BB43_14 Depth=1
                                        ; =>  This Loop Header: Depth=2
                                        ;       Child Loop BB43_21 Depth 3
	s_and_saveexec_b32 s29, s0
	s_cbranch_execz .LBB43_17
; %bb.19:                               ;   in Loop: Header=BB43_18 Depth=2
	s_lshl_b64 s[30:31], s[2:3], 3
	s_mul_hi_u32 s33, s2, s18
	s_add_u32 s30, s12, s30
	s_addc_u32 s31, s13, s31
	s_mul_i32 s36, s3, s18
	s_load_dwordx2 s[34:35], s[30:31], 0x0
	s_mul_i32 s31, s2, s19
	v_mov_b32_e32 v10, v4
	v_mov_b32_e32 v9, v3
	s_mul_i32 s30, s2, s18
	s_waitcnt lgkmcnt(0)
	s_sub_u32 s34, s34, s16
	s_subb_u32 s35, s35, 0
	s_add_i32 s31, s33, s31
	s_mul_i32 s33, s34, s19
	s_mul_hi_u32 s37, s34, s18
	s_mul_i32 s35, s35, s18
	s_add_i32 s33, s37, s33
	s_mul_i32 s34, s34, s18
	s_add_i32 s31, s31, s36
	s_add_i32 s35, s33, s35
	s_add_u32 s33, s8, s34
	s_addc_u32 s35, s9, s35
	s_mov_b32 s34, 0
	s_inst_prefetch 0x1
	s_branch .LBB43_21
	.p2align	6
.LBB43_20:                              ;   in Loop: Header=BB43_21 Depth=3
	v_add_co_u32 v11, vcc_lo, s14, v11
	v_add_co_ci_u32_e64 v12, null, s15, v12, vcc_lo
	v_add_co_u32 v17, vcc_lo, s33, v9
	v_add_co_ci_u32_e64 v18, null, s35, v10, vcc_lo
	global_load_sbyte v11, v[11:12], off
	global_load_sbyte v12, v[17:18], off
	v_add_co_u32 v9, vcc_lo, v9, 16
	v_add_co_ci_u32_e64 v10, null, 0, v10, vcc_lo
	v_cmp_le_i64_e32 vcc_lo, s[18:19], v[9:10]
	s_or_b32 s34, vcc_lo, s34
	s_waitcnt vmcnt(0)
	v_mad_i32_i24 v0, v12, v11, v0
	s_andn2_b32 exec_lo, exec_lo, s34
	s_cbranch_execz .LBB43_16
.LBB43_21:                              ;   Parent Loop BB43_14 Depth=1
                                        ;     Parent Loop BB43_18 Depth=2
                                        ; =>    This Inner Loop Header: Depth=3
	s_and_b32 vcc_lo, exec_lo, s24
	s_cbranch_vccz .LBB43_23
; %bb.22:                               ;   in Loop: Header=BB43_21 Depth=3
	v_add_co_u32 v11, vcc_lo, v9, s30
	v_add_co_ci_u32_e64 v12, null, s31, v10, vcc_lo
	v_mul_lo_u32 v17, v11, s19
	v_mul_lo_u32 v18, v12, s18
	v_mad_u64_u32 v[11:12], null, v11, s18, v[1:2]
	v_add3_u32 v12, v18, v12, v17
	s_cbranch_execnz .LBB43_20
	s_branch .LBB43_24
.LBB43_23:                              ;   in Loop: Header=BB43_21 Depth=3
                                        ; implicit-def: $vgpr11_vgpr12
.LBB43_24:                              ;   in Loop: Header=BB43_21 Depth=3
	v_add_co_u32 v11, vcc_lo, v7, v9
	v_add_co_ci_u32_e64 v12, null, v8, v10, vcc_lo
	s_branch .LBB43_20
.LBB43_25:                              ;   in Loop: Header=BB43_14 Depth=1
	s_waitcnt lgkmcnt(0)
	ds_bpermute_b32 v7, v13, v0
	s_waitcnt lgkmcnt(0)
	v_add_nc_u32_e32 v0, v7, v0
	ds_bpermute_b32 v7, v14, v0
	s_waitcnt lgkmcnt(0)
	v_add_nc_u32_e32 v0, v7, v0
	;; [unrolled: 3-line block ×3, first 2 shown]
	ds_bpermute_b32 v7, v16, v0
	s_and_saveexec_b32 s2, s1
	s_cbranch_execz .LBB43_13
; %bb.26:                               ;   in Loop: Header=BB43_14 Depth=1
	s_waitcnt lgkmcnt(0)
	v_add_nc_u32_e32 v0, v7, v0
	v_lshlrev_b64 v[7:8], 2, v[1:2]
	s_andn2_b32 vcc_lo, exec_lo, s25
	v_mul_lo_u32 v0, v0, s17
	s_cbranch_vccnz .LBB43_28
; %bb.27:                               ;   in Loop: Header=BB43_14 Depth=1
	v_add_co_u32 v9, vcc_lo, s21, v7
	v_add_co_ci_u32_e64 v10, null, s26, v8, vcc_lo
	global_load_dword v11, v[9:10], off
	s_waitcnt vmcnt(0)
	v_mad_u64_u32 v[11:12], null, v11, s22, v[0:1]
	global_store_dword v[9:10], v11, off
	s_cbranch_execnz .LBB43_13
	s_branch .LBB43_29
.LBB43_28:                              ;   in Loop: Header=BB43_14 Depth=1
.LBB43_29:                              ;   in Loop: Header=BB43_14 Depth=1
	v_add_co_u32 v7, vcc_lo, s21, v7
	v_add_co_ci_u32_e64 v8, null, s26, v8, vcc_lo
	global_store_dword v[7:8], v0, off
	s_branch .LBB43_13
.LBB43_30:
	s_endpgm
	.section	.rodata,"a",@progbits
	.p2align	6, 0x0
	.amdhsa_kernel _ZN9rocsparseL22bsrxmvn_general_kernelILj256ELj16EillaaiEEv20rocsparse_direction_NS_24const_host_device_scalarIT1_EET3_PKS5_PKT2_SA_S7_PKT4_S5_PKT5_S4_PT6_21rocsparse_index_base_b
		.amdhsa_group_segment_fixed_size 0
		.amdhsa_private_segment_fixed_size 0
		.amdhsa_kernarg_size 104
		.amdhsa_user_sgpr_count 6
		.amdhsa_user_sgpr_private_segment_buffer 1
		.amdhsa_user_sgpr_dispatch_ptr 0
		.amdhsa_user_sgpr_queue_ptr 0
		.amdhsa_user_sgpr_kernarg_segment_ptr 1
		.amdhsa_user_sgpr_dispatch_id 0
		.amdhsa_user_sgpr_flat_scratch_init 0
		.amdhsa_user_sgpr_private_segment_size 0
		.amdhsa_wavefront_size32 1
		.amdhsa_uses_dynamic_stack 0
		.amdhsa_system_sgpr_private_segment_wavefront_offset 0
		.amdhsa_system_sgpr_workgroup_id_x 1
		.amdhsa_system_sgpr_workgroup_id_y 0
		.amdhsa_system_sgpr_workgroup_id_z 0
		.amdhsa_system_sgpr_workgroup_info 0
		.amdhsa_system_vgpr_workitem_id 0
		.amdhsa_next_free_vgpr 19
		.amdhsa_next_free_sgpr 38
		.amdhsa_reserve_vcc 1
		.amdhsa_reserve_flat_scratch 0
		.amdhsa_float_round_mode_32 0
		.amdhsa_float_round_mode_16_64 0
		.amdhsa_float_denorm_mode_32 3
		.amdhsa_float_denorm_mode_16_64 3
		.amdhsa_dx10_clamp 1
		.amdhsa_ieee_mode 1
		.amdhsa_fp16_overflow 0
		.amdhsa_workgroup_processor_mode 1
		.amdhsa_memory_ordered 1
		.amdhsa_forward_progress 1
		.amdhsa_shared_vgpr_count 0
		.amdhsa_exception_fp_ieee_invalid_op 0
		.amdhsa_exception_fp_denorm_src 0
		.amdhsa_exception_fp_ieee_div_zero 0
		.amdhsa_exception_fp_ieee_overflow 0
		.amdhsa_exception_fp_ieee_underflow 0
		.amdhsa_exception_fp_ieee_inexact 0
		.amdhsa_exception_int_div_zero 0
	.end_amdhsa_kernel
	.section	.text._ZN9rocsparseL22bsrxmvn_general_kernelILj256ELj16EillaaiEEv20rocsparse_direction_NS_24const_host_device_scalarIT1_EET3_PKS5_PKT2_SA_S7_PKT4_S5_PKT5_S4_PT6_21rocsparse_index_base_b,"axG",@progbits,_ZN9rocsparseL22bsrxmvn_general_kernelILj256ELj16EillaaiEEv20rocsparse_direction_NS_24const_host_device_scalarIT1_EET3_PKS5_PKT2_SA_S7_PKT4_S5_PKT5_S4_PT6_21rocsparse_index_base_b,comdat
.Lfunc_end43:
	.size	_ZN9rocsparseL22bsrxmvn_general_kernelILj256ELj16EillaaiEEv20rocsparse_direction_NS_24const_host_device_scalarIT1_EET3_PKS5_PKT2_SA_S7_PKT4_S5_PKT5_S4_PT6_21rocsparse_index_base_b, .Lfunc_end43-_ZN9rocsparseL22bsrxmvn_general_kernelILj256ELj16EillaaiEEv20rocsparse_direction_NS_24const_host_device_scalarIT1_EET3_PKS5_PKT2_SA_S7_PKT4_S5_PKT5_S4_PT6_21rocsparse_index_base_b
                                        ; -- End function
	.set _ZN9rocsparseL22bsrxmvn_general_kernelILj256ELj16EillaaiEEv20rocsparse_direction_NS_24const_host_device_scalarIT1_EET3_PKS5_PKT2_SA_S7_PKT4_S5_PKT5_S4_PT6_21rocsparse_index_base_b.num_vgpr, 19
	.set _ZN9rocsparseL22bsrxmvn_general_kernelILj256ELj16EillaaiEEv20rocsparse_direction_NS_24const_host_device_scalarIT1_EET3_PKS5_PKT2_SA_S7_PKT4_S5_PKT5_S4_PT6_21rocsparse_index_base_b.num_agpr, 0
	.set _ZN9rocsparseL22bsrxmvn_general_kernelILj256ELj16EillaaiEEv20rocsparse_direction_NS_24const_host_device_scalarIT1_EET3_PKS5_PKT2_SA_S7_PKT4_S5_PKT5_S4_PT6_21rocsparse_index_base_b.numbered_sgpr, 38
	.set _ZN9rocsparseL22bsrxmvn_general_kernelILj256ELj16EillaaiEEv20rocsparse_direction_NS_24const_host_device_scalarIT1_EET3_PKS5_PKT2_SA_S7_PKT4_S5_PKT5_S4_PT6_21rocsparse_index_base_b.num_named_barrier, 0
	.set _ZN9rocsparseL22bsrxmvn_general_kernelILj256ELj16EillaaiEEv20rocsparse_direction_NS_24const_host_device_scalarIT1_EET3_PKS5_PKT2_SA_S7_PKT4_S5_PKT5_S4_PT6_21rocsparse_index_base_b.private_seg_size, 0
	.set _ZN9rocsparseL22bsrxmvn_general_kernelILj256ELj16EillaaiEEv20rocsparse_direction_NS_24const_host_device_scalarIT1_EET3_PKS5_PKT2_SA_S7_PKT4_S5_PKT5_S4_PT6_21rocsparse_index_base_b.uses_vcc, 1
	.set _ZN9rocsparseL22bsrxmvn_general_kernelILj256ELj16EillaaiEEv20rocsparse_direction_NS_24const_host_device_scalarIT1_EET3_PKS5_PKT2_SA_S7_PKT4_S5_PKT5_S4_PT6_21rocsparse_index_base_b.uses_flat_scratch, 0
	.set _ZN9rocsparseL22bsrxmvn_general_kernelILj256ELj16EillaaiEEv20rocsparse_direction_NS_24const_host_device_scalarIT1_EET3_PKS5_PKT2_SA_S7_PKT4_S5_PKT5_S4_PT6_21rocsparse_index_base_b.has_dyn_sized_stack, 0
	.set _ZN9rocsparseL22bsrxmvn_general_kernelILj256ELj16EillaaiEEv20rocsparse_direction_NS_24const_host_device_scalarIT1_EET3_PKS5_PKT2_SA_S7_PKT4_S5_PKT5_S4_PT6_21rocsparse_index_base_b.has_recursion, 0
	.set _ZN9rocsparseL22bsrxmvn_general_kernelILj256ELj16EillaaiEEv20rocsparse_direction_NS_24const_host_device_scalarIT1_EET3_PKS5_PKT2_SA_S7_PKT4_S5_PKT5_S4_PT6_21rocsparse_index_base_b.has_indirect_call, 0
	.section	.AMDGPU.csdata,"",@progbits
; Kernel info:
; codeLenInByte = 1256
; TotalNumSgprs: 40
; NumVgprs: 19
; ScratchSize: 0
; MemoryBound: 0
; FloatMode: 240
; IeeeMode: 1
; LDSByteSize: 0 bytes/workgroup (compile time only)
; SGPRBlocks: 0
; VGPRBlocks: 2
; NumSGPRsForWavesPerEU: 40
; NumVGPRsForWavesPerEU: 19
; Occupancy: 16
; WaveLimiterHint : 1
; COMPUTE_PGM_RSRC2:SCRATCH_EN: 0
; COMPUTE_PGM_RSRC2:USER_SGPR: 6
; COMPUTE_PGM_RSRC2:TRAP_HANDLER: 0
; COMPUTE_PGM_RSRC2:TGID_X_EN: 1
; COMPUTE_PGM_RSRC2:TGID_Y_EN: 0
; COMPUTE_PGM_RSRC2:TGID_Z_EN: 0
; COMPUTE_PGM_RSRC2:TIDIG_COMP_CNT: 0
	.section	.text._ZN9rocsparseL22bsrxmvn_general_kernelILj1024ELj32EillaaiEEv20rocsparse_direction_NS_24const_host_device_scalarIT1_EET3_PKS5_PKT2_SA_S7_PKT4_S5_PKT5_S4_PT6_21rocsparse_index_base_b,"axG",@progbits,_ZN9rocsparseL22bsrxmvn_general_kernelILj1024ELj32EillaaiEEv20rocsparse_direction_NS_24const_host_device_scalarIT1_EET3_PKS5_PKT2_SA_S7_PKT4_S5_PKT5_S4_PT6_21rocsparse_index_base_b,comdat
	.globl	_ZN9rocsparseL22bsrxmvn_general_kernelILj1024ELj32EillaaiEEv20rocsparse_direction_NS_24const_host_device_scalarIT1_EET3_PKS5_PKT2_SA_S7_PKT4_S5_PKT5_S4_PT6_21rocsparse_index_base_b ; -- Begin function _ZN9rocsparseL22bsrxmvn_general_kernelILj1024ELj32EillaaiEEv20rocsparse_direction_NS_24const_host_device_scalarIT1_EET3_PKS5_PKT2_SA_S7_PKT4_S5_PKT5_S4_PT6_21rocsparse_index_base_b
	.p2align	8
	.type	_ZN9rocsparseL22bsrxmvn_general_kernelILj1024ELj32EillaaiEEv20rocsparse_direction_NS_24const_host_device_scalarIT1_EET3_PKS5_PKT2_SA_S7_PKT4_S5_PKT5_S4_PT6_21rocsparse_index_base_b,@function
_ZN9rocsparseL22bsrxmvn_general_kernelILj1024ELj32EillaaiEEv20rocsparse_direction_NS_24const_host_device_scalarIT1_EET3_PKS5_PKT2_SA_S7_PKT4_S5_PKT5_S4_PT6_21rocsparse_index_base_b: ; @_ZN9rocsparseL22bsrxmvn_general_kernelILj1024ELj32EillaaiEEv20rocsparse_direction_NS_24const_host_device_scalarIT1_EET3_PKS5_PKT2_SA_S7_PKT4_S5_PKT5_S4_PT6_21rocsparse_index_base_b
; %bb.0:
	s_clause 0x1
	s_load_dwordx2 s[16:17], s[4:5], 0x60
	s_load_dwordx2 s[2:3], s[4:5], 0x8
	s_mov_b32 s8, -1
	s_waitcnt lgkmcnt(0)
	s_bitcmp1_b32 s17, 0
                                        ; implicit-def: $sgpr17
	s_cselect_b32 s0, -1, 0
	s_xor_b32 s7, s0, -1
	s_and_b32 vcc_lo, exec_lo, s7
	s_cbranch_vccnz .LBB44_4
; %bb.1:
	s_load_dwordx2 s[0:1], s[4:5], 0x50
	s_andn2_b32 vcc_lo, exec_lo, s8
	s_cbranch_vccz .LBB44_5
.LBB44_2:
	s_and_b32 vcc_lo, exec_lo, s7
	s_cbranch_vccz .LBB44_6
.LBB44_3:
	s_waitcnt lgkmcnt(0)
	s_load_dword s22, s[0:1], 0x0
	s_cbranch_execz .LBB44_7
	s_branch .LBB44_8
.LBB44_4:
	s_load_dword s17, s[2:3], 0x0
	s_load_dwordx2 s[0:1], s[4:5], 0x50
	s_cbranch_execnz .LBB44_2
.LBB44_5:
	s_waitcnt lgkmcnt(0)
	s_mov_b32 s17, s2
	s_and_b32 vcc_lo, exec_lo, s7
	s_cbranch_vccnz .LBB44_3
.LBB44_6:
	s_waitcnt lgkmcnt(0)
                                        ; implicit-def: $sgpr22
.LBB44_7:
	s_waitcnt lgkmcnt(0)
	s_mov_b32 s22, s0
.LBB44_8:
	s_cmp_lg_u32 s17, 0
	s_mov_b32 s7, 0
	s_cselect_b32 s0, -1, 0
	s_waitcnt lgkmcnt(0)
	s_cmp_lg_u32 s22, 1
	s_cselect_b32 s1, -1, 0
	s_or_b32 s0, s0, s1
	s_andn2_b32 vcc_lo, exec_lo, s0
	s_cbranch_vccnz .LBB44_30
; %bb.9:
	s_load_dwordx2 s[0:1], s[4:5], 0x18
	s_waitcnt lgkmcnt(0)
	s_cmp_eq_u64 s[0:1], 0
	s_cbranch_scc1 .LBB44_11
; %bb.10:
	s_lshl_b64 s[2:3], s[6:7], 3
	s_add_u32 s0, s0, s2
	s_addc_u32 s1, s1, s3
	s_load_dwordx2 s[0:1], s[0:1], 0x0
	s_waitcnt lgkmcnt(0)
	s_sub_u32 s6, s0, s16
	s_subb_u32 s7, s1, 0
.LBB44_11:
	s_load_dwordx2 s[18:19], s[4:5], 0x40
	v_lshrrev_b32_e32 v1, 5, v0
	v_mov_b32_e32 v2, 0
	s_mov_b32 s0, exec_lo
	s_waitcnt lgkmcnt(0)
	v_cmpx_gt_i64_e64 s[18:19], v[1:2]
	s_cbranch_execz .LBB44_30
; %bb.12:
	s_load_dwordx8 s[8:15], s[4:5], 0x20
	s_lshl_b64 s[24:25], s[6:7], 3
	v_and_b32_e32 v3, 31, v0
	v_mbcnt_lo_u32_b32 v0, -1, 0
	s_load_dword s29, s[4:5], 0x0
	s_mul_i32 s30, s6, s19
	s_mul_hi_u32 s31, s6, s18
	s_mul_i32 s28, s6, s18
	s_mul_i32 s33, s7, s18
	v_xor_b32_e32 v5, 16, v0
	v_xor_b32_e32 v6, 8, v0
	;; [unrolled: 1-line block ×5, first 2 shown]
	v_cmp_gt_i32_e32 vcc_lo, 32, v5
	v_mov_b32_e32 v4, v2
	s_mul_i32 s34, s18, s19
	s_mul_hi_u32 s35, s18, s18
	v_cmp_eq_u32_e64 s1, 31, v3
	v_cndmask_b32_e32 v10, v0, v5, vcc_lo
	s_waitcnt lgkmcnt(0)
	s_add_u32 s26, s8, s24
	s_addc_u32 s27, s9, s25
	v_cmp_gt_i32_e32 vcc_lo, 32, v6
	s_load_dwordx2 s[20:21], s[26:27], 0x0
	s_clause 0x1
	s_load_dwordx2 s[2:3], s[4:5], 0x58
	s_load_dwordx2 s[8:9], s[4:5], 0x48
	v_cmp_gt_u64_e64 s0, s[18:19], v[3:4]
	v_lshlrev_b32_e32 v13, 2, v10
	s_mov_b32 s23, 0
	v_cndmask_b32_e32 v11, v0, v6, vcc_lo
	v_cmp_gt_i32_e32 vcc_lo, 32, v7
	v_lshlrev_b32_e32 v14, 2, v11
	v_cndmask_b32_e32 v7, v0, v7, vcc_lo
	v_cmp_gt_i32_e32 vcc_lo, 32, v8
	v_lshlrev_b32_e32 v15, 2, v7
	v_cndmask_b32_e32 v8, v0, v8, vcc_lo
	v_cmp_gt_i32_e32 vcc_lo, 32, v9
	s_waitcnt lgkmcnt(0)
	s_sub_u32 s4, s20, s16
	s_subb_u32 s5, s21, 0
	s_add_u32 s6, s26, 8
	s_addc_u32 s7, s27, 0
	s_add_u32 s24, s10, s24
	s_addc_u32 s25, s11, s25
	s_cmp_eq_u64 s[10:11], 0
	v_mad_u64_u32 v[5:6], null, s18, s4, v[1:2]
	s_cselect_b32 s7, s7, s25
	s_cselect_b32 s6, s6, s24
	v_cndmask_b32_e32 v0, v0, v9, vcc_lo
	s_load_dwordx2 s[10:11], s[6:7], 0x0
	s_mul_i32 s6, s19, s4
	s_mul_i32 s7, s18, s5
	v_mul_lo_u32 v9, s19, v5
	v_add3_u32 v7, s7, s6, v6
	v_mad_u64_u32 v[5:6], null, s18, v5, 0
	v_lshlrev_b32_e32 v16, 2, v8
	v_lshlrev_b32_e32 v17, 2, v0
	v_mul_lo_u32 v7, s18, v7
	v_add3_u32 v6, v6, v7, v9
	s_waitcnt lgkmcnt(0)
	s_sub_u32 s6, s10, s16
	s_subb_u32 s7, s11, 0
	s_cmp_lg_u32 s29, 0
	v_cmp_lt_i64_e64 s20, s[20:21], s[10:11]
	s_cselect_b32 s24, -1, 0
	s_cmp_lg_u32 s22, 0
	s_cselect_b32 s25, -1, 0
	s_add_i32 s26, s31, s30
	s_add_i32 s29, s26, s33
	s_lshl_b64 s[26:27], s[28:29], 2
	s_mul_i32 s28, s18, s18
	s_add_u32 s21, s2, s26
	s_addc_u32 s26, s3, s27
	s_add_i32 s2, s35, s34
	s_lshl_b64 s[10:11], s[18:19], 5
	s_add_i32 s27, s2, s34
	s_branch .LBB44_14
.LBB44_13:                              ;   in Loop: Header=BB44_14 Depth=1
	s_or_b32 exec_lo, exec_lo, s2
	v_add_co_u32 v1, vcc_lo, v1, 32
	v_add_co_ci_u32_e64 v2, null, 0, v2, vcc_lo
	v_add_co_u32 v5, s2, v5, s10
	v_add_co_ci_u32_e64 v6, null, s11, v6, s2
	v_cmp_le_i64_e32 vcc_lo, s[18:19], v[1:2]
	s_or_b32 s23, vcc_lo, s23
	s_andn2_b32 exec_lo, exec_lo, s23
	s_cbranch_execz .LBB44_30
.LBB44_14:                              ; =>This Loop Header: Depth=1
                                        ;     Child Loop BB44_18 Depth 2
                                        ;       Child Loop BB44_21 Depth 3
	v_mov_b32_e32 v0, 0
	s_andn2_b32 vcc_lo, exec_lo, s20
	s_cbranch_vccnz .LBB44_25
; %bb.15:                               ;   in Loop: Header=BB44_14 Depth=1
	s_waitcnt lgkmcnt(0)
	v_mov_b32_e32 v8, v6
	v_mov_b32_e32 v0, 0
	;; [unrolled: 1-line block ×3, first 2 shown]
	s_mov_b64 s[2:3], s[4:5]
	s_branch .LBB44_18
.LBB44_16:                              ;   in Loop: Header=BB44_18 Depth=2
	s_inst_prefetch 0x2
	s_or_b32 exec_lo, exec_lo, s34
.LBB44_17:                              ;   in Loop: Header=BB44_18 Depth=2
	s_or_b32 exec_lo, exec_lo, s29
	s_add_u32 s2, s2, 1
	s_addc_u32 s3, s3, 0
	v_add_co_u32 v7, vcc_lo, v7, s28
	v_cmp_ge_i64_e64 s29, s[2:3], s[6:7]
	v_add_co_ci_u32_e64 v8, null, s27, v8, vcc_lo
	s_and_b32 vcc_lo, exec_lo, s29
	s_cbranch_vccnz .LBB44_25
.LBB44_18:                              ;   Parent Loop BB44_14 Depth=1
                                        ; =>  This Loop Header: Depth=2
                                        ;       Child Loop BB44_21 Depth 3
	s_and_saveexec_b32 s29, s0
	s_cbranch_execz .LBB44_17
; %bb.19:                               ;   in Loop: Header=BB44_18 Depth=2
	s_lshl_b64 s[30:31], s[2:3], 3
	s_mul_hi_u32 s33, s2, s18
	s_add_u32 s30, s12, s30
	s_addc_u32 s31, s13, s31
	s_mul_i32 s36, s3, s18
	s_load_dwordx2 s[34:35], s[30:31], 0x0
	s_mul_i32 s31, s2, s19
	v_mov_b32_e32 v10, v4
	v_mov_b32_e32 v9, v3
	s_mul_i32 s30, s2, s18
	s_waitcnt lgkmcnt(0)
	s_sub_u32 s34, s34, s16
	s_subb_u32 s35, s35, 0
	s_add_i32 s31, s33, s31
	s_mul_i32 s33, s34, s19
	s_mul_hi_u32 s37, s34, s18
	s_mul_i32 s35, s35, s18
	s_add_i32 s33, s37, s33
	s_mul_i32 s34, s34, s18
	s_add_i32 s31, s31, s36
	s_add_i32 s35, s33, s35
	s_add_u32 s33, s8, s34
	s_addc_u32 s35, s9, s35
	s_mov_b32 s34, 0
	s_inst_prefetch 0x1
	s_branch .LBB44_21
	.p2align	6
.LBB44_20:                              ;   in Loop: Header=BB44_21 Depth=3
	v_add_co_u32 v11, vcc_lo, s14, v11
	v_add_co_ci_u32_e64 v12, null, s15, v12, vcc_lo
	v_add_co_u32 v18, vcc_lo, s33, v9
	v_add_co_ci_u32_e64 v19, null, s35, v10, vcc_lo
	global_load_sbyte v11, v[11:12], off
	global_load_sbyte v12, v[18:19], off
	v_add_co_u32 v9, vcc_lo, v9, 32
	v_add_co_ci_u32_e64 v10, null, 0, v10, vcc_lo
	v_cmp_le_i64_e32 vcc_lo, s[18:19], v[9:10]
	s_or_b32 s34, vcc_lo, s34
	s_waitcnt vmcnt(0)
	v_mad_i32_i24 v0, v12, v11, v0
	s_andn2_b32 exec_lo, exec_lo, s34
	s_cbranch_execz .LBB44_16
.LBB44_21:                              ;   Parent Loop BB44_14 Depth=1
                                        ;     Parent Loop BB44_18 Depth=2
                                        ; =>    This Inner Loop Header: Depth=3
	s_and_b32 vcc_lo, exec_lo, s24
	s_cbranch_vccz .LBB44_23
; %bb.22:                               ;   in Loop: Header=BB44_21 Depth=3
	v_add_co_u32 v11, vcc_lo, v9, s30
	v_add_co_ci_u32_e64 v12, null, s31, v10, vcc_lo
	v_mul_lo_u32 v18, v11, s19
	v_mul_lo_u32 v19, v12, s18
	v_mad_u64_u32 v[11:12], null, v11, s18, v[1:2]
	v_add3_u32 v12, v19, v12, v18
	s_cbranch_execnz .LBB44_20
	s_branch .LBB44_24
.LBB44_23:                              ;   in Loop: Header=BB44_21 Depth=3
                                        ; implicit-def: $vgpr11_vgpr12
.LBB44_24:                              ;   in Loop: Header=BB44_21 Depth=3
	v_add_co_u32 v11, vcc_lo, v7, v9
	v_add_co_ci_u32_e64 v12, null, v8, v10, vcc_lo
	s_branch .LBB44_20
.LBB44_25:                              ;   in Loop: Header=BB44_14 Depth=1
	s_waitcnt lgkmcnt(0)
	ds_bpermute_b32 v7, v13, v0
	s_waitcnt lgkmcnt(0)
	v_add_nc_u32_e32 v0, v7, v0
	ds_bpermute_b32 v7, v14, v0
	s_waitcnt lgkmcnt(0)
	v_add_nc_u32_e32 v0, v7, v0
	;; [unrolled: 3-line block ×4, first 2 shown]
	ds_bpermute_b32 v7, v17, v0
	s_and_saveexec_b32 s2, s1
	s_cbranch_execz .LBB44_13
; %bb.26:                               ;   in Loop: Header=BB44_14 Depth=1
	s_waitcnt lgkmcnt(0)
	v_add_nc_u32_e32 v0, v7, v0
	v_lshlrev_b64 v[7:8], 2, v[1:2]
	s_andn2_b32 vcc_lo, exec_lo, s25
	v_mul_lo_u32 v0, v0, s17
	s_cbranch_vccnz .LBB44_28
; %bb.27:                               ;   in Loop: Header=BB44_14 Depth=1
	v_add_co_u32 v9, vcc_lo, s21, v7
	v_add_co_ci_u32_e64 v10, null, s26, v8, vcc_lo
	global_load_dword v11, v[9:10], off
	s_waitcnt vmcnt(0)
	v_mad_u64_u32 v[11:12], null, v11, s22, v[0:1]
	global_store_dword v[9:10], v11, off
	s_cbranch_execnz .LBB44_13
	s_branch .LBB44_29
.LBB44_28:                              ;   in Loop: Header=BB44_14 Depth=1
.LBB44_29:                              ;   in Loop: Header=BB44_14 Depth=1
	v_add_co_u32 v7, vcc_lo, s21, v7
	v_add_co_ci_u32_e64 v8, null, s26, v8, vcc_lo
	global_store_dword v[7:8], v0, off
	s_branch .LBB44_13
.LBB44_30:
	s_endpgm
	.section	.rodata,"a",@progbits
	.p2align	6, 0x0
	.amdhsa_kernel _ZN9rocsparseL22bsrxmvn_general_kernelILj1024ELj32EillaaiEEv20rocsparse_direction_NS_24const_host_device_scalarIT1_EET3_PKS5_PKT2_SA_S7_PKT4_S5_PKT5_S4_PT6_21rocsparse_index_base_b
		.amdhsa_group_segment_fixed_size 0
		.amdhsa_private_segment_fixed_size 0
		.amdhsa_kernarg_size 104
		.amdhsa_user_sgpr_count 6
		.amdhsa_user_sgpr_private_segment_buffer 1
		.amdhsa_user_sgpr_dispatch_ptr 0
		.amdhsa_user_sgpr_queue_ptr 0
		.amdhsa_user_sgpr_kernarg_segment_ptr 1
		.amdhsa_user_sgpr_dispatch_id 0
		.amdhsa_user_sgpr_flat_scratch_init 0
		.amdhsa_user_sgpr_private_segment_size 0
		.amdhsa_wavefront_size32 1
		.amdhsa_uses_dynamic_stack 0
		.amdhsa_system_sgpr_private_segment_wavefront_offset 0
		.amdhsa_system_sgpr_workgroup_id_x 1
		.amdhsa_system_sgpr_workgroup_id_y 0
		.amdhsa_system_sgpr_workgroup_id_z 0
		.amdhsa_system_sgpr_workgroup_info 0
		.amdhsa_system_vgpr_workitem_id 0
		.amdhsa_next_free_vgpr 20
		.amdhsa_next_free_sgpr 38
		.amdhsa_reserve_vcc 1
		.amdhsa_reserve_flat_scratch 0
		.amdhsa_float_round_mode_32 0
		.amdhsa_float_round_mode_16_64 0
		.amdhsa_float_denorm_mode_32 3
		.amdhsa_float_denorm_mode_16_64 3
		.amdhsa_dx10_clamp 1
		.amdhsa_ieee_mode 1
		.amdhsa_fp16_overflow 0
		.amdhsa_workgroup_processor_mode 1
		.amdhsa_memory_ordered 1
		.amdhsa_forward_progress 1
		.amdhsa_shared_vgpr_count 0
		.amdhsa_exception_fp_ieee_invalid_op 0
		.amdhsa_exception_fp_denorm_src 0
		.amdhsa_exception_fp_ieee_div_zero 0
		.amdhsa_exception_fp_ieee_overflow 0
		.amdhsa_exception_fp_ieee_underflow 0
		.amdhsa_exception_fp_ieee_inexact 0
		.amdhsa_exception_int_div_zero 0
	.end_amdhsa_kernel
	.section	.text._ZN9rocsparseL22bsrxmvn_general_kernelILj1024ELj32EillaaiEEv20rocsparse_direction_NS_24const_host_device_scalarIT1_EET3_PKS5_PKT2_SA_S7_PKT4_S5_PKT5_S4_PT6_21rocsparse_index_base_b,"axG",@progbits,_ZN9rocsparseL22bsrxmvn_general_kernelILj1024ELj32EillaaiEEv20rocsparse_direction_NS_24const_host_device_scalarIT1_EET3_PKS5_PKT2_SA_S7_PKT4_S5_PKT5_S4_PT6_21rocsparse_index_base_b,comdat
.Lfunc_end44:
	.size	_ZN9rocsparseL22bsrxmvn_general_kernelILj1024ELj32EillaaiEEv20rocsparse_direction_NS_24const_host_device_scalarIT1_EET3_PKS5_PKT2_SA_S7_PKT4_S5_PKT5_S4_PT6_21rocsparse_index_base_b, .Lfunc_end44-_ZN9rocsparseL22bsrxmvn_general_kernelILj1024ELj32EillaaiEEv20rocsparse_direction_NS_24const_host_device_scalarIT1_EET3_PKS5_PKT2_SA_S7_PKT4_S5_PKT5_S4_PT6_21rocsparse_index_base_b
                                        ; -- End function
	.set _ZN9rocsparseL22bsrxmvn_general_kernelILj1024ELj32EillaaiEEv20rocsparse_direction_NS_24const_host_device_scalarIT1_EET3_PKS5_PKT2_SA_S7_PKT4_S5_PKT5_S4_PT6_21rocsparse_index_base_b.num_vgpr, 20
	.set _ZN9rocsparseL22bsrxmvn_general_kernelILj1024ELj32EillaaiEEv20rocsparse_direction_NS_24const_host_device_scalarIT1_EET3_PKS5_PKT2_SA_S7_PKT4_S5_PKT5_S4_PT6_21rocsparse_index_base_b.num_agpr, 0
	.set _ZN9rocsparseL22bsrxmvn_general_kernelILj1024ELj32EillaaiEEv20rocsparse_direction_NS_24const_host_device_scalarIT1_EET3_PKS5_PKT2_SA_S7_PKT4_S5_PKT5_S4_PT6_21rocsparse_index_base_b.numbered_sgpr, 38
	.set _ZN9rocsparseL22bsrxmvn_general_kernelILj1024ELj32EillaaiEEv20rocsparse_direction_NS_24const_host_device_scalarIT1_EET3_PKS5_PKT2_SA_S7_PKT4_S5_PKT5_S4_PT6_21rocsparse_index_base_b.num_named_barrier, 0
	.set _ZN9rocsparseL22bsrxmvn_general_kernelILj1024ELj32EillaaiEEv20rocsparse_direction_NS_24const_host_device_scalarIT1_EET3_PKS5_PKT2_SA_S7_PKT4_S5_PKT5_S4_PT6_21rocsparse_index_base_b.private_seg_size, 0
	.set _ZN9rocsparseL22bsrxmvn_general_kernelILj1024ELj32EillaaiEEv20rocsparse_direction_NS_24const_host_device_scalarIT1_EET3_PKS5_PKT2_SA_S7_PKT4_S5_PKT5_S4_PT6_21rocsparse_index_base_b.uses_vcc, 1
	.set _ZN9rocsparseL22bsrxmvn_general_kernelILj1024ELj32EillaaiEEv20rocsparse_direction_NS_24const_host_device_scalarIT1_EET3_PKS5_PKT2_SA_S7_PKT4_S5_PKT5_S4_PT6_21rocsparse_index_base_b.uses_flat_scratch, 0
	.set _ZN9rocsparseL22bsrxmvn_general_kernelILj1024ELj32EillaaiEEv20rocsparse_direction_NS_24const_host_device_scalarIT1_EET3_PKS5_PKT2_SA_S7_PKT4_S5_PKT5_S4_PT6_21rocsparse_index_base_b.has_dyn_sized_stack, 0
	.set _ZN9rocsparseL22bsrxmvn_general_kernelILj1024ELj32EillaaiEEv20rocsparse_direction_NS_24const_host_device_scalarIT1_EET3_PKS5_PKT2_SA_S7_PKT4_S5_PKT5_S4_PT6_21rocsparse_index_base_b.has_recursion, 0
	.set _ZN9rocsparseL22bsrxmvn_general_kernelILj1024ELj32EillaaiEEv20rocsparse_direction_NS_24const_host_device_scalarIT1_EET3_PKS5_PKT2_SA_S7_PKT4_S5_PKT5_S4_PT6_21rocsparse_index_base_b.has_indirect_call, 0
	.section	.AMDGPU.csdata,"",@progbits
; Kernel info:
; codeLenInByte = 1336
; TotalNumSgprs: 40
; NumVgprs: 20
; ScratchSize: 0
; MemoryBound: 0
; FloatMode: 240
; IeeeMode: 1
; LDSByteSize: 0 bytes/workgroup (compile time only)
; SGPRBlocks: 0
; VGPRBlocks: 2
; NumSGPRsForWavesPerEU: 40
; NumVGPRsForWavesPerEU: 20
; Occupancy: 16
; WaveLimiterHint : 1
; COMPUTE_PGM_RSRC2:SCRATCH_EN: 0
; COMPUTE_PGM_RSRC2:USER_SGPR: 6
; COMPUTE_PGM_RSRC2:TRAP_HANDLER: 0
; COMPUTE_PGM_RSRC2:TGID_X_EN: 1
; COMPUTE_PGM_RSRC2:TGID_Y_EN: 0
; COMPUTE_PGM_RSRC2:TGID_Z_EN: 0
; COMPUTE_PGM_RSRC2:TIDIG_COMP_CNT: 0
	.section	.text._ZN9rocsparseL22bsrxmvn_general_kernelILj64ELj8EfiiaafEEv20rocsparse_direction_NS_24const_host_device_scalarIT1_EET3_PKS5_PKT2_SA_S7_PKT4_S5_PKT5_S4_PT6_21rocsparse_index_base_b,"axG",@progbits,_ZN9rocsparseL22bsrxmvn_general_kernelILj64ELj8EfiiaafEEv20rocsparse_direction_NS_24const_host_device_scalarIT1_EET3_PKS5_PKT2_SA_S7_PKT4_S5_PKT5_S4_PT6_21rocsparse_index_base_b,comdat
	.globl	_ZN9rocsparseL22bsrxmvn_general_kernelILj64ELj8EfiiaafEEv20rocsparse_direction_NS_24const_host_device_scalarIT1_EET3_PKS5_PKT2_SA_S7_PKT4_S5_PKT5_S4_PT6_21rocsparse_index_base_b ; -- Begin function _ZN9rocsparseL22bsrxmvn_general_kernelILj64ELj8EfiiaafEEv20rocsparse_direction_NS_24const_host_device_scalarIT1_EET3_PKS5_PKT2_SA_S7_PKT4_S5_PKT5_S4_PT6_21rocsparse_index_base_b
	.p2align	8
	.type	_ZN9rocsparseL22bsrxmvn_general_kernelILj64ELj8EfiiaafEEv20rocsparse_direction_NS_24const_host_device_scalarIT1_EET3_PKS5_PKT2_SA_S7_PKT4_S5_PKT5_S4_PT6_21rocsparse_index_base_b,@function
_ZN9rocsparseL22bsrxmvn_general_kernelILj64ELj8EfiiaafEEv20rocsparse_direction_NS_24const_host_device_scalarIT1_EET3_PKS5_PKT2_SA_S7_PKT4_S5_PKT5_S4_PT6_21rocsparse_index_base_b: ; @_ZN9rocsparseL22bsrxmvn_general_kernelILj64ELj8EfiiaafEEv20rocsparse_direction_NS_24const_host_device_scalarIT1_EET3_PKS5_PKT2_SA_S7_PKT4_S5_PKT5_S4_PT6_21rocsparse_index_base_b
; %bb.0:
	s_clause 0x2
	s_load_dwordx2 s[2:3], s[4:5], 0x60
	s_load_dwordx2 s[16:17], s[4:5], 0x8
	;; [unrolled: 1-line block ×3, first 2 shown]
	s_waitcnt lgkmcnt(0)
	s_bitcmp1_b32 s3, 0
	s_cselect_b32 s0, -1, 0
	s_and_b32 vcc_lo, exec_lo, s0
	s_xor_b32 s0, s0, -1
	s_cbranch_vccnz .LBB45_2
; %bb.1:
	s_load_dword s16, s[16:17], 0x0
.LBB45_2:
	s_andn2_b32 vcc_lo, exec_lo, s0
	s_cbranch_vccnz .LBB45_4
; %bb.3:
	s_load_dword s18, s[18:19], 0x0
.LBB45_4:
	s_waitcnt lgkmcnt(0)
	v_cmp_neq_f32_e64 s0, s16, 0
	v_cmp_neq_f32_e64 s1, s18, 1.0
	s_or_b32 s0, s0, s1
	s_andn2_b32 vcc_lo, exec_lo, s0
	s_cbranch_vccnz .LBB45_26
; %bb.5:
	s_load_dwordx2 s[0:1], s[4:5], 0x18
	s_waitcnt lgkmcnt(0)
	s_cmp_eq_u64 s[0:1], 0
	s_cbranch_scc1 .LBB45_7
; %bb.6:
	s_ashr_i32 s7, s6, 31
	s_lshl_b64 s[6:7], s[6:7], 2
	s_add_u32 s0, s0, s6
	s_addc_u32 s1, s1, s7
	s_load_dword s0, s[0:1], 0x0
	s_waitcnt lgkmcnt(0)
	s_sub_i32 s6, s0, s2
.LBB45_7:
	s_load_dword s3, s[4:5], 0x40
	v_lshrrev_b32_e32 v1, 3, v0
	s_mov_b32 s0, exec_lo
	s_waitcnt lgkmcnt(0)
	v_cmpx_gt_i32_e64 s3, v1
	s_cbranch_execz .LBB45_26
; %bb.8:
	s_load_dwordx8 s[8:15], s[4:5], 0x20
	s_ashr_i32 s7, s6, 31
	v_mbcnt_lo_u32_b32 v4, -1, 0
	s_lshl_b64 s[0:1], s[6:7], 2
	v_and_b32_e32 v3, 7, v0
	v_mov_b32_e32 v2, 0
	s_mul_hi_u32 s17, s3, s3
	v_xor_b32_e32 v5, 4, v4
	v_xor_b32_e32 v6, 2, v4
	v_xor_b32_e32 v7, 1, v4
	s_mul_i32 s19, s3, s3
	v_mul_lo_u32 v0, s3, v1
	v_cmp_gt_i32_e32 vcc_lo, 32, v5
	v_mul_lo_u32 v11, s3, v3
	s_mov_b32 s7, 0
	s_mul_i32 s6, s6, s3
	v_cndmask_b32_e32 v5, v4, v5, vcc_lo
	v_cmp_gt_i32_e32 vcc_lo, 32, v6
	s_waitcnt lgkmcnt(0)
	s_add_u32 s24, s8, s0
	s_addc_u32 s25, s9, s1
	v_lshlrev_b32_e32 v12, 2, v5
	s_load_dword s23, s[24:25], 0x0
	s_clause 0x2
	s_load_dwordx2 s[8:9], s[4:5], 0x58
	s_load_dwordx2 s[20:21], s[4:5], 0x48
	s_load_dword s4, s[4:5], 0x0
	v_cndmask_b32_e32 v6, v4, v6, vcc_lo
	v_cmp_gt_i32_e32 vcc_lo, 32, v7
	v_lshlrev_b32_e32 v13, 2, v6
	v_cndmask_b32_e32 v7, v4, v7, vcc_lo
	v_mov_b32_e32 v4, v2
	v_lshlrev_b32_e32 v14, 2, v7
	s_waitcnt lgkmcnt(0)
	s_sub_i32 s22, s23, s2
	s_add_u32 s5, s24, 4
	s_addc_u32 s24, s25, 0
	s_add_u32 s0, s10, s0
	s_addc_u32 s1, s11, s1
	s_cmp_eq_u64 s[10:11], 0
	s_mul_i32 s25, s22, s17
	s_cselect_b32 s1, s24, s1
	s_cselect_b32 s0, s5, s0
	v_cmp_eq_f32_e64 s10, s18, 0
	s_load_dword s5, s[0:1], 0x0
	v_cmp_gt_u32_e64 s0, s3, v3
	v_cmp_eq_u32_e64 s1, 7, v3
	s_waitcnt lgkmcnt(0)
	s_sub_i32 s11, s5, s2
	s_cmp_lt_i32 s23, s5
	s_mul_hi_u32 s5, s22, s19
	s_cselect_b32 s23, -1, 0
	s_cmp_lg_u32 s4, 0
	s_cselect_b32 s24, -1, 0
	s_ashr_i32 s4, s22, 31
	s_add_i32 s5, s5, s25
	s_mul_i32 s4, s4, s19
	s_mul_i32 s25, s22, s19
	s_add_i32 s26, s5, s4
	s_lshl_b32 s27, s3, 3
	s_branch .LBB45_10
.LBB45_9:                               ;   in Loop: Header=BB45_10 Depth=1
	s_or_b32 exec_lo, exec_lo, s4
	v_add_nc_u32_e32 v1, 8, v1
	v_add_nc_u32_e32 v0, s27, v0
	v_cmp_le_i32_e32 vcc_lo, s3, v1
	s_or_b32 s7, vcc_lo, s7
	s_andn2_b32 exec_lo, exec_lo, s7
	s_cbranch_execz .LBB45_26
.LBB45_10:                              ; =>This Loop Header: Depth=1
                                        ;     Child Loop BB45_14 Depth 2
                                        ;       Child Loop BB45_17 Depth 3
	v_mov_b32_e32 v15, 0
	s_andn2_b32 vcc_lo, exec_lo, s23
	s_cbranch_vccnz .LBB45_21
; %bb.11:                               ;   in Loop: Header=BB45_10 Depth=1
	v_ashrrev_i32_e32 v5, 31, v0
	v_add_co_u32 v16, vcc_lo, s25, v0
	v_mov_b32_e32 v15, 0
	s_mov_b32 s4, s22
	v_add_co_ci_u32_e64 v17, null, s26, v5, vcc_lo
	s_branch .LBB45_14
.LBB45_12:                              ;   in Loop: Header=BB45_14 Depth=2
	s_inst_prefetch 0x2
	s_or_b32 exec_lo, exec_lo, s5
.LBB45_13:                              ;   in Loop: Header=BB45_14 Depth=2
	s_or_b32 exec_lo, exec_lo, s28
	v_add_co_u32 v16, vcc_lo, v16, s19
	v_add_co_ci_u32_e64 v17, null, s17, v17, vcc_lo
	s_add_i32 s4, s4, 1
	s_cmp_ge_i32 s4, s11
	s_cbranch_scc1 .LBB45_21
.LBB45_14:                              ;   Parent Loop BB45_10 Depth=1
                                        ; =>  This Loop Header: Depth=2
                                        ;       Child Loop BB45_17 Depth 3
	s_and_saveexec_b32 s28, s0
	s_cbranch_execz .LBB45_13
; %bb.15:                               ;   in Loop: Header=BB45_14 Depth=2
	s_ashr_i32 s5, s4, 31
	s_waitcnt lgkmcnt(0)
	v_mad_u64_u32 v[5:6], null, s19, s4, v[1:2]
	s_lshl_b64 s[30:31], s[4:5], 2
	s_mul_i32 s5, s19, s5
	s_add_u32 s30, s12, s30
	s_addc_u32 s31, s13, s31
	v_mov_b32_e32 v8, v4
	s_load_dword s29, s[30:31], 0x0
	s_mul_i32 s30, s17, s4
	v_mov_b32_e32 v18, v11
	v_mov_b32_e32 v7, v3
	v_add3_u32 v6, s5, s30, v6
	s_waitcnt lgkmcnt(0)
	s_sub_i32 s5, s29, s2
	s_mul_i32 s29, s5, s3
	s_mov_b32 s5, 0
	s_inst_prefetch 0x1
	s_branch .LBB45_17
	.p2align	6
.LBB45_16:                              ;   in Loop: Header=BB45_17 Depth=3
	v_add_nc_u32_e32 v19, s29, v7
	v_add_co_u32 v9, vcc_lo, s14, v9
	v_add_co_ci_u32_e64 v10, null, s15, v10, vcc_lo
	v_ashrrev_i32_e32 v20, 31, v19
	v_add_co_u32 v19, vcc_lo, s20, v19
	v_add_nc_u32_e32 v18, s27, v18
	v_add_co_ci_u32_e64 v20, null, s21, v20, vcc_lo
	v_add_co_u32 v7, vcc_lo, v7, 8
	global_load_sbyte v9, v[9:10], off
	global_load_sbyte v10, v[19:20], off
	v_add_co_ci_u32_e64 v8, null, 0, v8, vcc_lo
	v_cmp_le_i32_e32 vcc_lo, s3, v7
	s_or_b32 s5, vcc_lo, s5
	s_waitcnt vmcnt(1)
	v_cvt_f32_i32_e32 v9, v9
	s_waitcnt vmcnt(0)
	v_cvt_f32_i32_e32 v10, v10
	v_fmac_f32_e32 v15, v9, v10
	s_andn2_b32 exec_lo, exec_lo, s5
	s_cbranch_execz .LBB45_12
.LBB45_17:                              ;   Parent Loop BB45_10 Depth=1
                                        ;     Parent Loop BB45_14 Depth=2
                                        ; =>    This Inner Loop Header: Depth=3
	s_and_b32 vcc_lo, exec_lo, s24
	s_cbranch_vccz .LBB45_19
; %bb.18:                               ;   in Loop: Header=BB45_17 Depth=3
	v_ashrrev_i32_e32 v10, 31, v18
	v_add_co_u32 v9, vcc_lo, v5, v18
	v_add_co_ci_u32_e64 v10, null, v6, v10, vcc_lo
	s_cbranch_execnz .LBB45_16
	s_branch .LBB45_20
.LBB45_19:                              ;   in Loop: Header=BB45_17 Depth=3
                                        ; implicit-def: $vgpr9_vgpr10
.LBB45_20:                              ;   in Loop: Header=BB45_17 Depth=3
	v_add_co_u32 v9, vcc_lo, v16, v7
	v_add_co_ci_u32_e64 v10, null, v17, v8, vcc_lo
	s_branch .LBB45_16
.LBB45_21:                              ;   in Loop: Header=BB45_10 Depth=1
	ds_bpermute_b32 v5, v12, v15
	s_waitcnt lgkmcnt(0)
	v_add_f32_e32 v5, v15, v5
	ds_bpermute_b32 v6, v13, v5
	s_waitcnt lgkmcnt(0)
	v_add_f32_e32 v5, v5, v6
	ds_bpermute_b32 v6, v14, v5
	s_and_saveexec_b32 s4, s1
	s_cbranch_execz .LBB45_9
; %bb.22:                               ;   in Loop: Header=BB45_10 Depth=1
	s_waitcnt lgkmcnt(0)
	v_add_f32_e32 v6, v5, v6
	v_add_nc_u32_e32 v5, s6, v1
	s_and_b32 vcc_lo, exec_lo, s10
	v_mul_f32_e32 v7, s16, v6
	v_ashrrev_i32_e32 v6, 31, v5
	s_cbranch_vccz .LBB45_24
; %bb.23:                               ;   in Loop: Header=BB45_10 Depth=1
	v_lshlrev_b64 v[8:9], 2, v[5:6]
	v_add_co_u32 v8, vcc_lo, s8, v8
	v_add_co_ci_u32_e64 v9, null, s9, v9, vcc_lo
	global_store_dword v[8:9], v7, off
	s_cbranch_execnz .LBB45_9
	s_branch .LBB45_25
.LBB45_24:                              ;   in Loop: Header=BB45_10 Depth=1
.LBB45_25:                              ;   in Loop: Header=BB45_10 Depth=1
	v_lshlrev_b64 v[5:6], 2, v[5:6]
	v_add_co_u32 v5, vcc_lo, s8, v5
	v_add_co_ci_u32_e64 v6, null, s9, v6, vcc_lo
	global_load_dword v8, v[5:6], off
	s_waitcnt vmcnt(0)
	v_fmac_f32_e32 v7, s18, v8
	global_store_dword v[5:6], v7, off
	s_branch .LBB45_9
.LBB45_26:
	s_endpgm
	.section	.rodata,"a",@progbits
	.p2align	6, 0x0
	.amdhsa_kernel _ZN9rocsparseL22bsrxmvn_general_kernelILj64ELj8EfiiaafEEv20rocsparse_direction_NS_24const_host_device_scalarIT1_EET3_PKS5_PKT2_SA_S7_PKT4_S5_PKT5_S4_PT6_21rocsparse_index_base_b
		.amdhsa_group_segment_fixed_size 0
		.amdhsa_private_segment_fixed_size 0
		.amdhsa_kernarg_size 104
		.amdhsa_user_sgpr_count 6
		.amdhsa_user_sgpr_private_segment_buffer 1
		.amdhsa_user_sgpr_dispatch_ptr 0
		.amdhsa_user_sgpr_queue_ptr 0
		.amdhsa_user_sgpr_kernarg_segment_ptr 1
		.amdhsa_user_sgpr_dispatch_id 0
		.amdhsa_user_sgpr_flat_scratch_init 0
		.amdhsa_user_sgpr_private_segment_size 0
		.amdhsa_wavefront_size32 1
		.amdhsa_uses_dynamic_stack 0
		.amdhsa_system_sgpr_private_segment_wavefront_offset 0
		.amdhsa_system_sgpr_workgroup_id_x 1
		.amdhsa_system_sgpr_workgroup_id_y 0
		.amdhsa_system_sgpr_workgroup_id_z 0
		.amdhsa_system_sgpr_workgroup_info 0
		.amdhsa_system_vgpr_workitem_id 0
		.amdhsa_next_free_vgpr 21
		.amdhsa_next_free_sgpr 32
		.amdhsa_reserve_vcc 1
		.amdhsa_reserve_flat_scratch 0
		.amdhsa_float_round_mode_32 0
		.amdhsa_float_round_mode_16_64 0
		.amdhsa_float_denorm_mode_32 3
		.amdhsa_float_denorm_mode_16_64 3
		.amdhsa_dx10_clamp 1
		.amdhsa_ieee_mode 1
		.amdhsa_fp16_overflow 0
		.amdhsa_workgroup_processor_mode 1
		.amdhsa_memory_ordered 1
		.amdhsa_forward_progress 1
		.amdhsa_shared_vgpr_count 0
		.amdhsa_exception_fp_ieee_invalid_op 0
		.amdhsa_exception_fp_denorm_src 0
		.amdhsa_exception_fp_ieee_div_zero 0
		.amdhsa_exception_fp_ieee_overflow 0
		.amdhsa_exception_fp_ieee_underflow 0
		.amdhsa_exception_fp_ieee_inexact 0
		.amdhsa_exception_int_div_zero 0
	.end_amdhsa_kernel
	.section	.text._ZN9rocsparseL22bsrxmvn_general_kernelILj64ELj8EfiiaafEEv20rocsparse_direction_NS_24const_host_device_scalarIT1_EET3_PKS5_PKT2_SA_S7_PKT4_S5_PKT5_S4_PT6_21rocsparse_index_base_b,"axG",@progbits,_ZN9rocsparseL22bsrxmvn_general_kernelILj64ELj8EfiiaafEEv20rocsparse_direction_NS_24const_host_device_scalarIT1_EET3_PKS5_PKT2_SA_S7_PKT4_S5_PKT5_S4_PT6_21rocsparse_index_base_b,comdat
.Lfunc_end45:
	.size	_ZN9rocsparseL22bsrxmvn_general_kernelILj64ELj8EfiiaafEEv20rocsparse_direction_NS_24const_host_device_scalarIT1_EET3_PKS5_PKT2_SA_S7_PKT4_S5_PKT5_S4_PT6_21rocsparse_index_base_b, .Lfunc_end45-_ZN9rocsparseL22bsrxmvn_general_kernelILj64ELj8EfiiaafEEv20rocsparse_direction_NS_24const_host_device_scalarIT1_EET3_PKS5_PKT2_SA_S7_PKT4_S5_PKT5_S4_PT6_21rocsparse_index_base_b
                                        ; -- End function
	.set _ZN9rocsparseL22bsrxmvn_general_kernelILj64ELj8EfiiaafEEv20rocsparse_direction_NS_24const_host_device_scalarIT1_EET3_PKS5_PKT2_SA_S7_PKT4_S5_PKT5_S4_PT6_21rocsparse_index_base_b.num_vgpr, 21
	.set _ZN9rocsparseL22bsrxmvn_general_kernelILj64ELj8EfiiaafEEv20rocsparse_direction_NS_24const_host_device_scalarIT1_EET3_PKS5_PKT2_SA_S7_PKT4_S5_PKT5_S4_PT6_21rocsparse_index_base_b.num_agpr, 0
	.set _ZN9rocsparseL22bsrxmvn_general_kernelILj64ELj8EfiiaafEEv20rocsparse_direction_NS_24const_host_device_scalarIT1_EET3_PKS5_PKT2_SA_S7_PKT4_S5_PKT5_S4_PT6_21rocsparse_index_base_b.numbered_sgpr, 32
	.set _ZN9rocsparseL22bsrxmvn_general_kernelILj64ELj8EfiiaafEEv20rocsparse_direction_NS_24const_host_device_scalarIT1_EET3_PKS5_PKT2_SA_S7_PKT4_S5_PKT5_S4_PT6_21rocsparse_index_base_b.num_named_barrier, 0
	.set _ZN9rocsparseL22bsrxmvn_general_kernelILj64ELj8EfiiaafEEv20rocsparse_direction_NS_24const_host_device_scalarIT1_EET3_PKS5_PKT2_SA_S7_PKT4_S5_PKT5_S4_PT6_21rocsparse_index_base_b.private_seg_size, 0
	.set _ZN9rocsparseL22bsrxmvn_general_kernelILj64ELj8EfiiaafEEv20rocsparse_direction_NS_24const_host_device_scalarIT1_EET3_PKS5_PKT2_SA_S7_PKT4_S5_PKT5_S4_PT6_21rocsparse_index_base_b.uses_vcc, 1
	.set _ZN9rocsparseL22bsrxmvn_general_kernelILj64ELj8EfiiaafEEv20rocsparse_direction_NS_24const_host_device_scalarIT1_EET3_PKS5_PKT2_SA_S7_PKT4_S5_PKT5_S4_PT6_21rocsparse_index_base_b.uses_flat_scratch, 0
	.set _ZN9rocsparseL22bsrxmvn_general_kernelILj64ELj8EfiiaafEEv20rocsparse_direction_NS_24const_host_device_scalarIT1_EET3_PKS5_PKT2_SA_S7_PKT4_S5_PKT5_S4_PT6_21rocsparse_index_base_b.has_dyn_sized_stack, 0
	.set _ZN9rocsparseL22bsrxmvn_general_kernelILj64ELj8EfiiaafEEv20rocsparse_direction_NS_24const_host_device_scalarIT1_EET3_PKS5_PKT2_SA_S7_PKT4_S5_PKT5_S4_PT6_21rocsparse_index_base_b.has_recursion, 0
	.set _ZN9rocsparseL22bsrxmvn_general_kernelILj64ELj8EfiiaafEEv20rocsparse_direction_NS_24const_host_device_scalarIT1_EET3_PKS5_PKT2_SA_S7_PKT4_S5_PKT5_S4_PT6_21rocsparse_index_base_b.has_indirect_call, 0
	.section	.AMDGPU.csdata,"",@progbits
; Kernel info:
; codeLenInByte = 1044
; TotalNumSgprs: 34
; NumVgprs: 21
; ScratchSize: 0
; MemoryBound: 0
; FloatMode: 240
; IeeeMode: 1
; LDSByteSize: 0 bytes/workgroup (compile time only)
; SGPRBlocks: 0
; VGPRBlocks: 2
; NumSGPRsForWavesPerEU: 34
; NumVGPRsForWavesPerEU: 21
; Occupancy: 16
; WaveLimiterHint : 1
; COMPUTE_PGM_RSRC2:SCRATCH_EN: 0
; COMPUTE_PGM_RSRC2:USER_SGPR: 6
; COMPUTE_PGM_RSRC2:TRAP_HANDLER: 0
; COMPUTE_PGM_RSRC2:TGID_X_EN: 1
; COMPUTE_PGM_RSRC2:TGID_Y_EN: 0
; COMPUTE_PGM_RSRC2:TGID_Z_EN: 0
; COMPUTE_PGM_RSRC2:TIDIG_COMP_CNT: 0
	.section	.text._ZN9rocsparseL22bsrxmvn_general_kernelILj256ELj16EfiiaafEEv20rocsparse_direction_NS_24const_host_device_scalarIT1_EET3_PKS5_PKT2_SA_S7_PKT4_S5_PKT5_S4_PT6_21rocsparse_index_base_b,"axG",@progbits,_ZN9rocsparseL22bsrxmvn_general_kernelILj256ELj16EfiiaafEEv20rocsparse_direction_NS_24const_host_device_scalarIT1_EET3_PKS5_PKT2_SA_S7_PKT4_S5_PKT5_S4_PT6_21rocsparse_index_base_b,comdat
	.globl	_ZN9rocsparseL22bsrxmvn_general_kernelILj256ELj16EfiiaafEEv20rocsparse_direction_NS_24const_host_device_scalarIT1_EET3_PKS5_PKT2_SA_S7_PKT4_S5_PKT5_S4_PT6_21rocsparse_index_base_b ; -- Begin function _ZN9rocsparseL22bsrxmvn_general_kernelILj256ELj16EfiiaafEEv20rocsparse_direction_NS_24const_host_device_scalarIT1_EET3_PKS5_PKT2_SA_S7_PKT4_S5_PKT5_S4_PT6_21rocsparse_index_base_b
	.p2align	8
	.type	_ZN9rocsparseL22bsrxmvn_general_kernelILj256ELj16EfiiaafEEv20rocsparse_direction_NS_24const_host_device_scalarIT1_EET3_PKS5_PKT2_SA_S7_PKT4_S5_PKT5_S4_PT6_21rocsparse_index_base_b,@function
_ZN9rocsparseL22bsrxmvn_general_kernelILj256ELj16EfiiaafEEv20rocsparse_direction_NS_24const_host_device_scalarIT1_EET3_PKS5_PKT2_SA_S7_PKT4_S5_PKT5_S4_PT6_21rocsparse_index_base_b: ; @_ZN9rocsparseL22bsrxmvn_general_kernelILj256ELj16EfiiaafEEv20rocsparse_direction_NS_24const_host_device_scalarIT1_EET3_PKS5_PKT2_SA_S7_PKT4_S5_PKT5_S4_PT6_21rocsparse_index_base_b
; %bb.0:
	s_clause 0x2
	s_load_dwordx2 s[2:3], s[4:5], 0x60
	s_load_dwordx2 s[16:17], s[4:5], 0x8
	;; [unrolled: 1-line block ×3, first 2 shown]
	s_waitcnt lgkmcnt(0)
	s_bitcmp1_b32 s3, 0
	s_cselect_b32 s0, -1, 0
	s_and_b32 vcc_lo, exec_lo, s0
	s_xor_b32 s0, s0, -1
	s_cbranch_vccnz .LBB46_2
; %bb.1:
	s_load_dword s16, s[16:17], 0x0
.LBB46_2:
	s_andn2_b32 vcc_lo, exec_lo, s0
	s_cbranch_vccnz .LBB46_4
; %bb.3:
	s_load_dword s18, s[18:19], 0x0
.LBB46_4:
	s_waitcnt lgkmcnt(0)
	v_cmp_neq_f32_e64 s0, s16, 0
	v_cmp_neq_f32_e64 s1, s18, 1.0
	s_or_b32 s0, s0, s1
	s_andn2_b32 vcc_lo, exec_lo, s0
	s_cbranch_vccnz .LBB46_26
; %bb.5:
	s_load_dwordx2 s[0:1], s[4:5], 0x18
	s_waitcnt lgkmcnt(0)
	s_cmp_eq_u64 s[0:1], 0
	s_cbranch_scc1 .LBB46_7
; %bb.6:
	s_ashr_i32 s7, s6, 31
	s_lshl_b64 s[6:7], s[6:7], 2
	s_add_u32 s0, s0, s6
	s_addc_u32 s1, s1, s7
	s_load_dword s0, s[0:1], 0x0
	s_waitcnt lgkmcnt(0)
	s_sub_i32 s6, s0, s2
.LBB46_7:
	s_load_dword s3, s[4:5], 0x40
	v_lshrrev_b32_e32 v1, 4, v0
	s_mov_b32 s0, exec_lo
	s_waitcnt lgkmcnt(0)
	v_cmpx_gt_i32_e64 s3, v1
	s_cbranch_execz .LBB46_26
; %bb.8:
	s_load_dwordx8 s[8:15], s[4:5], 0x20
	s_ashr_i32 s7, s6, 31
	v_mbcnt_lo_u32_b32 v5, -1, 0
	s_lshl_b64 s[0:1], s[6:7], 2
	s_load_dword s27, s[4:5], 0x0
	v_and_b32_e32 v3, 15, v0
	v_mov_b32_e32 v2, 0
	v_xor_b32_e32 v6, 8, v5
	v_xor_b32_e32 v7, 4, v5
	;; [unrolled: 1-line block ×4, first 2 shown]
	s_mul_hi_u32 s17, s3, s3
	v_cmp_gt_i32_e32 vcc_lo, 32, v6
	s_mul_i32 s19, s3, s3
	v_mul_lo_u32 v0, s3, v1
	v_mul_lo_u32 v11, s3, v3
	v_cmp_eq_f32_e64 s22, s18, 0
	v_cndmask_b32_e32 v6, v5, v6, vcc_lo
	v_cmp_gt_i32_e32 vcc_lo, 32, v7
	v_mov_b32_e32 v4, v2
	s_waitcnt lgkmcnt(0)
	s_add_u32 s24, s8, s0
	s_addc_u32 s25, s9, s1
	v_lshlrev_b32_e32 v12, 2, v6
	s_load_dword s26, s[24:25], 0x0
	s_clause 0x1
	s_load_dwordx2 s[8:9], s[4:5], 0x58
	s_load_dwordx2 s[20:21], s[4:5], 0x48
	v_cndmask_b32_e32 v7, v5, v7, vcc_lo
	v_cmp_gt_i32_e32 vcc_lo, 32, v8
	s_mov_b32 s7, 0
	s_mul_i32 s6, s6, s3
	v_lshlrev_b32_e32 v13, 2, v7
	v_cndmask_b32_e32 v8, v5, v8, vcc_lo
	v_cmp_gt_i32_e32 vcc_lo, 32, v9
	v_lshlrev_b32_e32 v14, 2, v8
	v_cndmask_b32_e32 v5, v5, v9, vcc_lo
	v_lshlrev_b32_e32 v15, 2, v5
	s_waitcnt lgkmcnt(0)
	s_sub_i32 s23, s26, s2
	s_add_u32 s4, s24, 4
	s_addc_u32 s5, s25, 0
	s_add_u32 s24, s10, s0
	s_addc_u32 s1, s11, s1
	s_cmp_eq_u64 s[10:11], 0
	v_cmp_gt_u32_e64 s0, s3, v3
	s_cselect_b32 s5, s5, s1
	s_cselect_b32 s4, s4, s24
	v_cmp_eq_u32_e64 s1, 15, v3
	s_load_dword s4, s[4:5], 0x0
	s_mul_i32 s5, s23, s17
	s_waitcnt lgkmcnt(0)
	s_sub_i32 s10, s4, s2
	s_cmp_lt_i32 s26, s4
	s_mul_hi_u32 s4, s23, s19
	s_cselect_b32 s11, -1, 0
	s_cmp_lg_u32 s27, 0
	s_cselect_b32 s24, -1, 0
	s_ashr_i32 s25, s23, 31
	s_add_i32 s4, s4, s5
	s_mul_i32 s5, s25, s19
	s_mul_i32 s25, s23, s19
	s_add_i32 s26, s4, s5
	s_lshl_b32 s27, s3, 4
	s_branch .LBB46_10
.LBB46_9:                               ;   in Loop: Header=BB46_10 Depth=1
	s_or_b32 exec_lo, exec_lo, s4
	v_add_nc_u32_e32 v1, 16, v1
	v_add_nc_u32_e32 v0, s27, v0
	v_cmp_le_i32_e32 vcc_lo, s3, v1
	s_or_b32 s7, vcc_lo, s7
	s_andn2_b32 exec_lo, exec_lo, s7
	s_cbranch_execz .LBB46_26
.LBB46_10:                              ; =>This Loop Header: Depth=1
                                        ;     Child Loop BB46_14 Depth 2
                                        ;       Child Loop BB46_17 Depth 3
	v_mov_b32_e32 v16, 0
	s_andn2_b32 vcc_lo, exec_lo, s11
	s_cbranch_vccnz .LBB46_21
; %bb.11:                               ;   in Loop: Header=BB46_10 Depth=1
	v_ashrrev_i32_e32 v5, 31, v0
	v_add_co_u32 v17, vcc_lo, s25, v0
	v_mov_b32_e32 v16, 0
	s_mov_b32 s4, s23
	v_add_co_ci_u32_e64 v18, null, s26, v5, vcc_lo
	s_branch .LBB46_14
.LBB46_12:                              ;   in Loop: Header=BB46_14 Depth=2
	s_inst_prefetch 0x2
	s_or_b32 exec_lo, exec_lo, s5
.LBB46_13:                              ;   in Loop: Header=BB46_14 Depth=2
	s_or_b32 exec_lo, exec_lo, s28
	v_add_co_u32 v17, vcc_lo, v17, s19
	v_add_co_ci_u32_e64 v18, null, s17, v18, vcc_lo
	s_add_i32 s4, s4, 1
	s_cmp_ge_i32 s4, s10
	s_cbranch_scc1 .LBB46_21
.LBB46_14:                              ;   Parent Loop BB46_10 Depth=1
                                        ; =>  This Loop Header: Depth=2
                                        ;       Child Loop BB46_17 Depth 3
	s_and_saveexec_b32 s28, s0
	s_cbranch_execz .LBB46_13
; %bb.15:                               ;   in Loop: Header=BB46_14 Depth=2
	s_ashr_i32 s5, s4, 31
	s_waitcnt lgkmcnt(0)
	v_mad_u64_u32 v[5:6], null, s19, s4, v[1:2]
	s_lshl_b64 s[30:31], s[4:5], 2
	s_mul_i32 s5, s19, s5
	s_add_u32 s30, s12, s30
	s_addc_u32 s31, s13, s31
	v_mov_b32_e32 v8, v4
	s_load_dword s29, s[30:31], 0x0
	s_mul_i32 s30, s17, s4
	v_mov_b32_e32 v19, v11
	v_mov_b32_e32 v7, v3
	v_add3_u32 v6, s5, s30, v6
	s_waitcnt lgkmcnt(0)
	s_sub_i32 s5, s29, s2
	s_mul_i32 s29, s5, s3
	s_mov_b32 s5, 0
	s_inst_prefetch 0x1
	s_branch .LBB46_17
	.p2align	6
.LBB46_16:                              ;   in Loop: Header=BB46_17 Depth=3
	v_add_nc_u32_e32 v20, s29, v7
	v_add_co_u32 v9, vcc_lo, s14, v9
	v_add_co_ci_u32_e64 v10, null, s15, v10, vcc_lo
	v_ashrrev_i32_e32 v21, 31, v20
	v_add_co_u32 v20, vcc_lo, s20, v20
	v_add_nc_u32_e32 v19, s27, v19
	v_add_co_ci_u32_e64 v21, null, s21, v21, vcc_lo
	v_add_co_u32 v7, vcc_lo, v7, 16
	global_load_sbyte v9, v[9:10], off
	global_load_sbyte v10, v[20:21], off
	v_add_co_ci_u32_e64 v8, null, 0, v8, vcc_lo
	v_cmp_le_i32_e32 vcc_lo, s3, v7
	s_or_b32 s5, vcc_lo, s5
	s_waitcnt vmcnt(1)
	v_cvt_f32_i32_e32 v9, v9
	s_waitcnt vmcnt(0)
	v_cvt_f32_i32_e32 v10, v10
	v_fmac_f32_e32 v16, v9, v10
	s_andn2_b32 exec_lo, exec_lo, s5
	s_cbranch_execz .LBB46_12
.LBB46_17:                              ;   Parent Loop BB46_10 Depth=1
                                        ;     Parent Loop BB46_14 Depth=2
                                        ; =>    This Inner Loop Header: Depth=3
	s_and_b32 vcc_lo, exec_lo, s24
	s_cbranch_vccz .LBB46_19
; %bb.18:                               ;   in Loop: Header=BB46_17 Depth=3
	v_ashrrev_i32_e32 v10, 31, v19
	v_add_co_u32 v9, vcc_lo, v5, v19
	v_add_co_ci_u32_e64 v10, null, v6, v10, vcc_lo
	s_cbranch_execnz .LBB46_16
	s_branch .LBB46_20
.LBB46_19:                              ;   in Loop: Header=BB46_17 Depth=3
                                        ; implicit-def: $vgpr9_vgpr10
.LBB46_20:                              ;   in Loop: Header=BB46_17 Depth=3
	v_add_co_u32 v9, vcc_lo, v17, v7
	v_add_co_ci_u32_e64 v10, null, v18, v8, vcc_lo
	s_branch .LBB46_16
.LBB46_21:                              ;   in Loop: Header=BB46_10 Depth=1
	ds_bpermute_b32 v5, v12, v16
	s_waitcnt lgkmcnt(0)
	v_add_f32_e32 v5, v16, v5
	ds_bpermute_b32 v6, v13, v5
	s_waitcnt lgkmcnt(0)
	v_add_f32_e32 v5, v5, v6
	;; [unrolled: 3-line block ×3, first 2 shown]
	ds_bpermute_b32 v6, v15, v5
	s_and_saveexec_b32 s4, s1
	s_cbranch_execz .LBB46_9
; %bb.22:                               ;   in Loop: Header=BB46_10 Depth=1
	s_waitcnt lgkmcnt(0)
	v_add_f32_e32 v6, v5, v6
	v_add_nc_u32_e32 v5, s6, v1
	s_and_b32 vcc_lo, exec_lo, s22
	v_mul_f32_e32 v7, s16, v6
	v_ashrrev_i32_e32 v6, 31, v5
	s_cbranch_vccz .LBB46_24
; %bb.23:                               ;   in Loop: Header=BB46_10 Depth=1
	v_lshlrev_b64 v[8:9], 2, v[5:6]
	v_add_co_u32 v8, vcc_lo, s8, v8
	v_add_co_ci_u32_e64 v9, null, s9, v9, vcc_lo
	global_store_dword v[8:9], v7, off
	s_cbranch_execnz .LBB46_9
	s_branch .LBB46_25
.LBB46_24:                              ;   in Loop: Header=BB46_10 Depth=1
.LBB46_25:                              ;   in Loop: Header=BB46_10 Depth=1
	v_lshlrev_b64 v[5:6], 2, v[5:6]
	v_add_co_u32 v5, vcc_lo, s8, v5
	v_add_co_ci_u32_e64 v6, null, s9, v6, vcc_lo
	global_load_dword v8, v[5:6], off
	s_waitcnt vmcnt(0)
	v_fmac_f32_e32 v7, s18, v8
	global_store_dword v[5:6], v7, off
	s_branch .LBB46_9
.LBB46_26:
	s_endpgm
	.section	.rodata,"a",@progbits
	.p2align	6, 0x0
	.amdhsa_kernel _ZN9rocsparseL22bsrxmvn_general_kernelILj256ELj16EfiiaafEEv20rocsparse_direction_NS_24const_host_device_scalarIT1_EET3_PKS5_PKT2_SA_S7_PKT4_S5_PKT5_S4_PT6_21rocsparse_index_base_b
		.amdhsa_group_segment_fixed_size 0
		.amdhsa_private_segment_fixed_size 0
		.amdhsa_kernarg_size 104
		.amdhsa_user_sgpr_count 6
		.amdhsa_user_sgpr_private_segment_buffer 1
		.amdhsa_user_sgpr_dispatch_ptr 0
		.amdhsa_user_sgpr_queue_ptr 0
		.amdhsa_user_sgpr_kernarg_segment_ptr 1
		.amdhsa_user_sgpr_dispatch_id 0
		.amdhsa_user_sgpr_flat_scratch_init 0
		.amdhsa_user_sgpr_private_segment_size 0
		.amdhsa_wavefront_size32 1
		.amdhsa_uses_dynamic_stack 0
		.amdhsa_system_sgpr_private_segment_wavefront_offset 0
		.amdhsa_system_sgpr_workgroup_id_x 1
		.amdhsa_system_sgpr_workgroup_id_y 0
		.amdhsa_system_sgpr_workgroup_id_z 0
		.amdhsa_system_sgpr_workgroup_info 0
		.amdhsa_system_vgpr_workitem_id 0
		.amdhsa_next_free_vgpr 22
		.amdhsa_next_free_sgpr 32
		.amdhsa_reserve_vcc 1
		.amdhsa_reserve_flat_scratch 0
		.amdhsa_float_round_mode_32 0
		.amdhsa_float_round_mode_16_64 0
		.amdhsa_float_denorm_mode_32 3
		.amdhsa_float_denorm_mode_16_64 3
		.amdhsa_dx10_clamp 1
		.amdhsa_ieee_mode 1
		.amdhsa_fp16_overflow 0
		.amdhsa_workgroup_processor_mode 1
		.amdhsa_memory_ordered 1
		.amdhsa_forward_progress 1
		.amdhsa_shared_vgpr_count 0
		.amdhsa_exception_fp_ieee_invalid_op 0
		.amdhsa_exception_fp_denorm_src 0
		.amdhsa_exception_fp_ieee_div_zero 0
		.amdhsa_exception_fp_ieee_overflow 0
		.amdhsa_exception_fp_ieee_underflow 0
		.amdhsa_exception_fp_ieee_inexact 0
		.amdhsa_exception_int_div_zero 0
	.end_amdhsa_kernel
	.section	.text._ZN9rocsparseL22bsrxmvn_general_kernelILj256ELj16EfiiaafEEv20rocsparse_direction_NS_24const_host_device_scalarIT1_EET3_PKS5_PKT2_SA_S7_PKT4_S5_PKT5_S4_PT6_21rocsparse_index_base_b,"axG",@progbits,_ZN9rocsparseL22bsrxmvn_general_kernelILj256ELj16EfiiaafEEv20rocsparse_direction_NS_24const_host_device_scalarIT1_EET3_PKS5_PKT2_SA_S7_PKT4_S5_PKT5_S4_PT6_21rocsparse_index_base_b,comdat
.Lfunc_end46:
	.size	_ZN9rocsparseL22bsrxmvn_general_kernelILj256ELj16EfiiaafEEv20rocsparse_direction_NS_24const_host_device_scalarIT1_EET3_PKS5_PKT2_SA_S7_PKT4_S5_PKT5_S4_PT6_21rocsparse_index_base_b, .Lfunc_end46-_ZN9rocsparseL22bsrxmvn_general_kernelILj256ELj16EfiiaafEEv20rocsparse_direction_NS_24const_host_device_scalarIT1_EET3_PKS5_PKT2_SA_S7_PKT4_S5_PKT5_S4_PT6_21rocsparse_index_base_b
                                        ; -- End function
	.set _ZN9rocsparseL22bsrxmvn_general_kernelILj256ELj16EfiiaafEEv20rocsparse_direction_NS_24const_host_device_scalarIT1_EET3_PKS5_PKT2_SA_S7_PKT4_S5_PKT5_S4_PT6_21rocsparse_index_base_b.num_vgpr, 22
	.set _ZN9rocsparseL22bsrxmvn_general_kernelILj256ELj16EfiiaafEEv20rocsparse_direction_NS_24const_host_device_scalarIT1_EET3_PKS5_PKT2_SA_S7_PKT4_S5_PKT5_S4_PT6_21rocsparse_index_base_b.num_agpr, 0
	.set _ZN9rocsparseL22bsrxmvn_general_kernelILj256ELj16EfiiaafEEv20rocsparse_direction_NS_24const_host_device_scalarIT1_EET3_PKS5_PKT2_SA_S7_PKT4_S5_PKT5_S4_PT6_21rocsparse_index_base_b.numbered_sgpr, 32
	.set _ZN9rocsparseL22bsrxmvn_general_kernelILj256ELj16EfiiaafEEv20rocsparse_direction_NS_24const_host_device_scalarIT1_EET3_PKS5_PKT2_SA_S7_PKT4_S5_PKT5_S4_PT6_21rocsparse_index_base_b.num_named_barrier, 0
	.set _ZN9rocsparseL22bsrxmvn_general_kernelILj256ELj16EfiiaafEEv20rocsparse_direction_NS_24const_host_device_scalarIT1_EET3_PKS5_PKT2_SA_S7_PKT4_S5_PKT5_S4_PT6_21rocsparse_index_base_b.private_seg_size, 0
	.set _ZN9rocsparseL22bsrxmvn_general_kernelILj256ELj16EfiiaafEEv20rocsparse_direction_NS_24const_host_device_scalarIT1_EET3_PKS5_PKT2_SA_S7_PKT4_S5_PKT5_S4_PT6_21rocsparse_index_base_b.uses_vcc, 1
	.set _ZN9rocsparseL22bsrxmvn_general_kernelILj256ELj16EfiiaafEEv20rocsparse_direction_NS_24const_host_device_scalarIT1_EET3_PKS5_PKT2_SA_S7_PKT4_S5_PKT5_S4_PT6_21rocsparse_index_base_b.uses_flat_scratch, 0
	.set _ZN9rocsparseL22bsrxmvn_general_kernelILj256ELj16EfiiaafEEv20rocsparse_direction_NS_24const_host_device_scalarIT1_EET3_PKS5_PKT2_SA_S7_PKT4_S5_PKT5_S4_PT6_21rocsparse_index_base_b.has_dyn_sized_stack, 0
	.set _ZN9rocsparseL22bsrxmvn_general_kernelILj256ELj16EfiiaafEEv20rocsparse_direction_NS_24const_host_device_scalarIT1_EET3_PKS5_PKT2_SA_S7_PKT4_S5_PKT5_S4_PT6_21rocsparse_index_base_b.has_recursion, 0
	.set _ZN9rocsparseL22bsrxmvn_general_kernelILj256ELj16EfiiaafEEv20rocsparse_direction_NS_24const_host_device_scalarIT1_EET3_PKS5_PKT2_SA_S7_PKT4_S5_PKT5_S4_PT6_21rocsparse_index_base_b.has_indirect_call, 0
	.section	.AMDGPU.csdata,"",@progbits
; Kernel info:
; codeLenInByte = 1124
; TotalNumSgprs: 34
; NumVgprs: 22
; ScratchSize: 0
; MemoryBound: 0
; FloatMode: 240
; IeeeMode: 1
; LDSByteSize: 0 bytes/workgroup (compile time only)
; SGPRBlocks: 0
; VGPRBlocks: 2
; NumSGPRsForWavesPerEU: 34
; NumVGPRsForWavesPerEU: 22
; Occupancy: 16
; WaveLimiterHint : 1
; COMPUTE_PGM_RSRC2:SCRATCH_EN: 0
; COMPUTE_PGM_RSRC2:USER_SGPR: 6
; COMPUTE_PGM_RSRC2:TRAP_HANDLER: 0
; COMPUTE_PGM_RSRC2:TGID_X_EN: 1
; COMPUTE_PGM_RSRC2:TGID_Y_EN: 0
; COMPUTE_PGM_RSRC2:TGID_Z_EN: 0
; COMPUTE_PGM_RSRC2:TIDIG_COMP_CNT: 0
	.section	.text._ZN9rocsparseL22bsrxmvn_general_kernelILj1024ELj32EfiiaafEEv20rocsparse_direction_NS_24const_host_device_scalarIT1_EET3_PKS5_PKT2_SA_S7_PKT4_S5_PKT5_S4_PT6_21rocsparse_index_base_b,"axG",@progbits,_ZN9rocsparseL22bsrxmvn_general_kernelILj1024ELj32EfiiaafEEv20rocsparse_direction_NS_24const_host_device_scalarIT1_EET3_PKS5_PKT2_SA_S7_PKT4_S5_PKT5_S4_PT6_21rocsparse_index_base_b,comdat
	.globl	_ZN9rocsparseL22bsrxmvn_general_kernelILj1024ELj32EfiiaafEEv20rocsparse_direction_NS_24const_host_device_scalarIT1_EET3_PKS5_PKT2_SA_S7_PKT4_S5_PKT5_S4_PT6_21rocsparse_index_base_b ; -- Begin function _ZN9rocsparseL22bsrxmvn_general_kernelILj1024ELj32EfiiaafEEv20rocsparse_direction_NS_24const_host_device_scalarIT1_EET3_PKS5_PKT2_SA_S7_PKT4_S5_PKT5_S4_PT6_21rocsparse_index_base_b
	.p2align	8
	.type	_ZN9rocsparseL22bsrxmvn_general_kernelILj1024ELj32EfiiaafEEv20rocsparse_direction_NS_24const_host_device_scalarIT1_EET3_PKS5_PKT2_SA_S7_PKT4_S5_PKT5_S4_PT6_21rocsparse_index_base_b,@function
_ZN9rocsparseL22bsrxmvn_general_kernelILj1024ELj32EfiiaafEEv20rocsparse_direction_NS_24const_host_device_scalarIT1_EET3_PKS5_PKT2_SA_S7_PKT4_S5_PKT5_S4_PT6_21rocsparse_index_base_b: ; @_ZN9rocsparseL22bsrxmvn_general_kernelILj1024ELj32EfiiaafEEv20rocsparse_direction_NS_24const_host_device_scalarIT1_EET3_PKS5_PKT2_SA_S7_PKT4_S5_PKT5_S4_PT6_21rocsparse_index_base_b
; %bb.0:
	s_clause 0x2
	s_load_dwordx2 s[2:3], s[4:5], 0x60
	s_load_dwordx2 s[16:17], s[4:5], 0x8
	;; [unrolled: 1-line block ×3, first 2 shown]
	s_waitcnt lgkmcnt(0)
	s_bitcmp1_b32 s3, 0
	s_cselect_b32 s0, -1, 0
	s_and_b32 vcc_lo, exec_lo, s0
	s_xor_b32 s0, s0, -1
	s_cbranch_vccnz .LBB47_2
; %bb.1:
	s_load_dword s16, s[16:17], 0x0
.LBB47_2:
	s_andn2_b32 vcc_lo, exec_lo, s0
	s_cbranch_vccnz .LBB47_4
; %bb.3:
	s_load_dword s18, s[18:19], 0x0
.LBB47_4:
	s_waitcnt lgkmcnt(0)
	v_cmp_neq_f32_e64 s0, s16, 0
	v_cmp_neq_f32_e64 s1, s18, 1.0
	s_or_b32 s0, s0, s1
	s_andn2_b32 vcc_lo, exec_lo, s0
	s_cbranch_vccnz .LBB47_26
; %bb.5:
	s_load_dwordx2 s[0:1], s[4:5], 0x18
	s_waitcnt lgkmcnt(0)
	s_cmp_eq_u64 s[0:1], 0
	s_cbranch_scc1 .LBB47_7
; %bb.6:
	s_ashr_i32 s7, s6, 31
	s_lshl_b64 s[6:7], s[6:7], 2
	s_add_u32 s0, s0, s6
	s_addc_u32 s1, s1, s7
	s_load_dword s0, s[0:1], 0x0
	s_waitcnt lgkmcnt(0)
	s_sub_i32 s6, s0, s2
.LBB47_7:
	s_load_dword s3, s[4:5], 0x40
	v_lshrrev_b32_e32 v1, 5, v0
	s_mov_b32 s0, exec_lo
	s_waitcnt lgkmcnt(0)
	v_cmpx_gt_i32_e64 s3, v1
	s_cbranch_execz .LBB47_26
; %bb.8:
	s_load_dwordx8 s[8:15], s[4:5], 0x20
	s_ashr_i32 s7, s6, 31
	v_mbcnt_lo_u32_b32 v5, -1, 0
	s_lshl_b64 s[24:25], s[6:7], 2
	s_load_dword s29, s[4:5], 0x0
	v_and_b32_e32 v3, 31, v0
	v_mov_b32_e32 v2, 0
	v_xor_b32_e32 v6, 16, v5
	v_xor_b32_e32 v7, 8, v5
	;; [unrolled: 1-line block ×5, first 2 shown]
	v_cmp_gt_i32_e32 vcc_lo, 32, v6
	s_mul_hi_u32 s17, s3, s3
	s_mul_i32 s19, s3, s3
	v_mul_lo_u32 v0, s3, v1
	v_mul_lo_u32 v11, s3, v3
	v_cndmask_b32_e32 v6, v5, v6, vcc_lo
	v_cmp_gt_i32_e32 vcc_lo, 32, v7
	v_cmp_eq_f32_e64 s22, s18, 0
	s_waitcnt lgkmcnt(0)
	s_add_u32 s26, s8, s24
	s_addc_u32 s27, s9, s25
	v_cmp_gt_u32_e64 s0, s3, v3
	s_load_dword s28, s[26:27], 0x0
	s_clause 0x1
	s_load_dwordx2 s[8:9], s[4:5], 0x58
	s_load_dwordx2 s[20:21], s[4:5], 0x48
	v_cndmask_b32_e32 v7, v5, v7, vcc_lo
	v_cmp_gt_i32_e32 vcc_lo, 32, v8
	v_mov_b32_e32 v4, v2
	v_lshlrev_b32_e32 v12, 2, v6
	s_mov_b32 s7, 0
	v_lshlrev_b32_e32 v13, 2, v7
	v_cndmask_b32_e32 v8, v5, v8, vcc_lo
	v_cmp_gt_i32_e32 vcc_lo, 32, v9
	s_mul_i32 s6, s6, s3
	v_lshlrev_b32_e32 v14, 2, v8
	v_cndmask_b32_e32 v9, v5, v9, vcc_lo
	v_cmp_gt_i32_e32 vcc_lo, 32, v10
	v_lshlrev_b32_e32 v15, 2, v9
	s_waitcnt lgkmcnt(0)
	s_sub_i32 s23, s28, s2
	s_add_u32 s1, s26, 4
	s_addc_u32 s4, s27, 0
	s_add_u32 s24, s10, s24
	s_addc_u32 s5, s11, s25
	s_cmp_eq_u64 s[10:11], 0
	v_cndmask_b32_e32 v5, v5, v10, vcc_lo
	s_cselect_b32 s5, s4, s5
	s_cselect_b32 s4, s1, s24
	v_cmp_eq_u32_e64 s1, 31, v3
	s_load_dword s4, s[4:5], 0x0
	s_mul_i32 s5, s23, s17
	v_lshlrev_b32_e32 v16, 2, v5
	s_waitcnt lgkmcnt(0)
	s_sub_i32 s10, s4, s2
	s_cmp_lt_i32 s28, s4
	s_mul_hi_u32 s4, s23, s19
	s_cselect_b32 s11, -1, 0
	s_cmp_lg_u32 s29, 0
	s_cselect_b32 s24, -1, 0
	s_ashr_i32 s25, s23, 31
	s_add_i32 s4, s4, s5
	s_mul_i32 s5, s25, s19
	s_mul_i32 s25, s23, s19
	s_add_i32 s26, s4, s5
	s_lshl_b32 s27, s3, 5
	s_branch .LBB47_10
.LBB47_9:                               ;   in Loop: Header=BB47_10 Depth=1
	s_or_b32 exec_lo, exec_lo, s4
	v_add_nc_u32_e32 v1, 32, v1
	v_add_nc_u32_e32 v0, s27, v0
	v_cmp_le_i32_e32 vcc_lo, s3, v1
	s_or_b32 s7, vcc_lo, s7
	s_andn2_b32 exec_lo, exec_lo, s7
	s_cbranch_execz .LBB47_26
.LBB47_10:                              ; =>This Loop Header: Depth=1
                                        ;     Child Loop BB47_14 Depth 2
                                        ;       Child Loop BB47_17 Depth 3
	v_mov_b32_e32 v17, 0
	s_andn2_b32 vcc_lo, exec_lo, s11
	s_cbranch_vccnz .LBB47_21
; %bb.11:                               ;   in Loop: Header=BB47_10 Depth=1
	v_ashrrev_i32_e32 v5, 31, v0
	v_add_co_u32 v18, vcc_lo, s25, v0
	v_mov_b32_e32 v17, 0
	s_mov_b32 s4, s23
	v_add_co_ci_u32_e64 v19, null, s26, v5, vcc_lo
	s_branch .LBB47_14
.LBB47_12:                              ;   in Loop: Header=BB47_14 Depth=2
	s_inst_prefetch 0x2
	s_or_b32 exec_lo, exec_lo, s5
.LBB47_13:                              ;   in Loop: Header=BB47_14 Depth=2
	s_or_b32 exec_lo, exec_lo, s28
	v_add_co_u32 v18, vcc_lo, v18, s19
	v_add_co_ci_u32_e64 v19, null, s17, v19, vcc_lo
	s_add_i32 s4, s4, 1
	s_cmp_ge_i32 s4, s10
	s_cbranch_scc1 .LBB47_21
.LBB47_14:                              ;   Parent Loop BB47_10 Depth=1
                                        ; =>  This Loop Header: Depth=2
                                        ;       Child Loop BB47_17 Depth 3
	s_and_saveexec_b32 s28, s0
	s_cbranch_execz .LBB47_13
; %bb.15:                               ;   in Loop: Header=BB47_14 Depth=2
	s_ashr_i32 s5, s4, 31
	s_waitcnt lgkmcnt(0)
	v_mad_u64_u32 v[5:6], null, s19, s4, v[1:2]
	s_lshl_b64 s[30:31], s[4:5], 2
	s_mul_i32 s5, s19, s5
	s_add_u32 s30, s12, s30
	s_addc_u32 s31, s13, s31
	v_mov_b32_e32 v8, v4
	s_load_dword s29, s[30:31], 0x0
	s_mul_i32 s30, s17, s4
	v_mov_b32_e32 v20, v11
	v_mov_b32_e32 v7, v3
	v_add3_u32 v6, s5, s30, v6
	s_waitcnt lgkmcnt(0)
	s_sub_i32 s5, s29, s2
	s_mul_i32 s29, s5, s3
	s_mov_b32 s5, 0
	s_inst_prefetch 0x1
	s_branch .LBB47_17
	.p2align	6
.LBB47_16:                              ;   in Loop: Header=BB47_17 Depth=3
	v_add_nc_u32_e32 v21, s29, v7
	v_add_co_u32 v9, vcc_lo, s14, v9
	v_add_co_ci_u32_e64 v10, null, s15, v10, vcc_lo
	v_ashrrev_i32_e32 v22, 31, v21
	v_add_co_u32 v21, vcc_lo, s20, v21
	v_add_nc_u32_e32 v20, s27, v20
	v_add_co_ci_u32_e64 v22, null, s21, v22, vcc_lo
	v_add_co_u32 v7, vcc_lo, v7, 32
	global_load_sbyte v9, v[9:10], off
	global_load_sbyte v10, v[21:22], off
	v_add_co_ci_u32_e64 v8, null, 0, v8, vcc_lo
	v_cmp_le_i32_e32 vcc_lo, s3, v7
	s_or_b32 s5, vcc_lo, s5
	s_waitcnt vmcnt(1)
	v_cvt_f32_i32_e32 v9, v9
	s_waitcnt vmcnt(0)
	v_cvt_f32_i32_e32 v10, v10
	v_fmac_f32_e32 v17, v9, v10
	s_andn2_b32 exec_lo, exec_lo, s5
	s_cbranch_execz .LBB47_12
.LBB47_17:                              ;   Parent Loop BB47_10 Depth=1
                                        ;     Parent Loop BB47_14 Depth=2
                                        ; =>    This Inner Loop Header: Depth=3
	s_and_b32 vcc_lo, exec_lo, s24
	s_cbranch_vccz .LBB47_19
; %bb.18:                               ;   in Loop: Header=BB47_17 Depth=3
	v_ashrrev_i32_e32 v10, 31, v20
	v_add_co_u32 v9, vcc_lo, v5, v20
	v_add_co_ci_u32_e64 v10, null, v6, v10, vcc_lo
	s_cbranch_execnz .LBB47_16
	s_branch .LBB47_20
.LBB47_19:                              ;   in Loop: Header=BB47_17 Depth=3
                                        ; implicit-def: $vgpr9_vgpr10
.LBB47_20:                              ;   in Loop: Header=BB47_17 Depth=3
	v_add_co_u32 v9, vcc_lo, v18, v7
	v_add_co_ci_u32_e64 v10, null, v19, v8, vcc_lo
	s_branch .LBB47_16
.LBB47_21:                              ;   in Loop: Header=BB47_10 Depth=1
	ds_bpermute_b32 v5, v12, v17
	s_waitcnt lgkmcnt(0)
	v_add_f32_e32 v5, v17, v5
	ds_bpermute_b32 v6, v13, v5
	s_waitcnt lgkmcnt(0)
	v_add_f32_e32 v5, v5, v6
	;; [unrolled: 3-line block ×4, first 2 shown]
	ds_bpermute_b32 v6, v16, v5
	s_and_saveexec_b32 s4, s1
	s_cbranch_execz .LBB47_9
; %bb.22:                               ;   in Loop: Header=BB47_10 Depth=1
	s_waitcnt lgkmcnt(0)
	v_add_f32_e32 v6, v5, v6
	v_add_nc_u32_e32 v5, s6, v1
	s_and_b32 vcc_lo, exec_lo, s22
	v_mul_f32_e32 v7, s16, v6
	v_ashrrev_i32_e32 v6, 31, v5
	s_cbranch_vccz .LBB47_24
; %bb.23:                               ;   in Loop: Header=BB47_10 Depth=1
	v_lshlrev_b64 v[8:9], 2, v[5:6]
	v_add_co_u32 v8, vcc_lo, s8, v8
	v_add_co_ci_u32_e64 v9, null, s9, v9, vcc_lo
	global_store_dword v[8:9], v7, off
	s_cbranch_execnz .LBB47_9
	s_branch .LBB47_25
.LBB47_24:                              ;   in Loop: Header=BB47_10 Depth=1
.LBB47_25:                              ;   in Loop: Header=BB47_10 Depth=1
	v_lshlrev_b64 v[5:6], 2, v[5:6]
	v_add_co_u32 v5, vcc_lo, s8, v5
	v_add_co_ci_u32_e64 v6, null, s9, v6, vcc_lo
	global_load_dword v8, v[5:6], off
	s_waitcnt vmcnt(0)
	v_fmac_f32_e32 v7, s18, v8
	global_store_dword v[5:6], v7, off
	s_branch .LBB47_9
.LBB47_26:
	s_endpgm
	.section	.rodata,"a",@progbits
	.p2align	6, 0x0
	.amdhsa_kernel _ZN9rocsparseL22bsrxmvn_general_kernelILj1024ELj32EfiiaafEEv20rocsparse_direction_NS_24const_host_device_scalarIT1_EET3_PKS5_PKT2_SA_S7_PKT4_S5_PKT5_S4_PT6_21rocsparse_index_base_b
		.amdhsa_group_segment_fixed_size 0
		.amdhsa_private_segment_fixed_size 0
		.amdhsa_kernarg_size 104
		.amdhsa_user_sgpr_count 6
		.amdhsa_user_sgpr_private_segment_buffer 1
		.amdhsa_user_sgpr_dispatch_ptr 0
		.amdhsa_user_sgpr_queue_ptr 0
		.amdhsa_user_sgpr_kernarg_segment_ptr 1
		.amdhsa_user_sgpr_dispatch_id 0
		.amdhsa_user_sgpr_flat_scratch_init 0
		.amdhsa_user_sgpr_private_segment_size 0
		.amdhsa_wavefront_size32 1
		.amdhsa_uses_dynamic_stack 0
		.amdhsa_system_sgpr_private_segment_wavefront_offset 0
		.amdhsa_system_sgpr_workgroup_id_x 1
		.amdhsa_system_sgpr_workgroup_id_y 0
		.amdhsa_system_sgpr_workgroup_id_z 0
		.amdhsa_system_sgpr_workgroup_info 0
		.amdhsa_system_vgpr_workitem_id 0
		.amdhsa_next_free_vgpr 23
		.amdhsa_next_free_sgpr 32
		.amdhsa_reserve_vcc 1
		.amdhsa_reserve_flat_scratch 0
		.amdhsa_float_round_mode_32 0
		.amdhsa_float_round_mode_16_64 0
		.amdhsa_float_denorm_mode_32 3
		.amdhsa_float_denorm_mode_16_64 3
		.amdhsa_dx10_clamp 1
		.amdhsa_ieee_mode 1
		.amdhsa_fp16_overflow 0
		.amdhsa_workgroup_processor_mode 1
		.amdhsa_memory_ordered 1
		.amdhsa_forward_progress 1
		.amdhsa_shared_vgpr_count 0
		.amdhsa_exception_fp_ieee_invalid_op 0
		.amdhsa_exception_fp_denorm_src 0
		.amdhsa_exception_fp_ieee_div_zero 0
		.amdhsa_exception_fp_ieee_overflow 0
		.amdhsa_exception_fp_ieee_underflow 0
		.amdhsa_exception_fp_ieee_inexact 0
		.amdhsa_exception_int_div_zero 0
	.end_amdhsa_kernel
	.section	.text._ZN9rocsparseL22bsrxmvn_general_kernelILj1024ELj32EfiiaafEEv20rocsparse_direction_NS_24const_host_device_scalarIT1_EET3_PKS5_PKT2_SA_S7_PKT4_S5_PKT5_S4_PT6_21rocsparse_index_base_b,"axG",@progbits,_ZN9rocsparseL22bsrxmvn_general_kernelILj1024ELj32EfiiaafEEv20rocsparse_direction_NS_24const_host_device_scalarIT1_EET3_PKS5_PKT2_SA_S7_PKT4_S5_PKT5_S4_PT6_21rocsparse_index_base_b,comdat
.Lfunc_end47:
	.size	_ZN9rocsparseL22bsrxmvn_general_kernelILj1024ELj32EfiiaafEEv20rocsparse_direction_NS_24const_host_device_scalarIT1_EET3_PKS5_PKT2_SA_S7_PKT4_S5_PKT5_S4_PT6_21rocsparse_index_base_b, .Lfunc_end47-_ZN9rocsparseL22bsrxmvn_general_kernelILj1024ELj32EfiiaafEEv20rocsparse_direction_NS_24const_host_device_scalarIT1_EET3_PKS5_PKT2_SA_S7_PKT4_S5_PKT5_S4_PT6_21rocsparse_index_base_b
                                        ; -- End function
	.set _ZN9rocsparseL22bsrxmvn_general_kernelILj1024ELj32EfiiaafEEv20rocsparse_direction_NS_24const_host_device_scalarIT1_EET3_PKS5_PKT2_SA_S7_PKT4_S5_PKT5_S4_PT6_21rocsparse_index_base_b.num_vgpr, 23
	.set _ZN9rocsparseL22bsrxmvn_general_kernelILj1024ELj32EfiiaafEEv20rocsparse_direction_NS_24const_host_device_scalarIT1_EET3_PKS5_PKT2_SA_S7_PKT4_S5_PKT5_S4_PT6_21rocsparse_index_base_b.num_agpr, 0
	.set _ZN9rocsparseL22bsrxmvn_general_kernelILj1024ELj32EfiiaafEEv20rocsparse_direction_NS_24const_host_device_scalarIT1_EET3_PKS5_PKT2_SA_S7_PKT4_S5_PKT5_S4_PT6_21rocsparse_index_base_b.numbered_sgpr, 32
	.set _ZN9rocsparseL22bsrxmvn_general_kernelILj1024ELj32EfiiaafEEv20rocsparse_direction_NS_24const_host_device_scalarIT1_EET3_PKS5_PKT2_SA_S7_PKT4_S5_PKT5_S4_PT6_21rocsparse_index_base_b.num_named_barrier, 0
	.set _ZN9rocsparseL22bsrxmvn_general_kernelILj1024ELj32EfiiaafEEv20rocsparse_direction_NS_24const_host_device_scalarIT1_EET3_PKS5_PKT2_SA_S7_PKT4_S5_PKT5_S4_PT6_21rocsparse_index_base_b.private_seg_size, 0
	.set _ZN9rocsparseL22bsrxmvn_general_kernelILj1024ELj32EfiiaafEEv20rocsparse_direction_NS_24const_host_device_scalarIT1_EET3_PKS5_PKT2_SA_S7_PKT4_S5_PKT5_S4_PT6_21rocsparse_index_base_b.uses_vcc, 1
	.set _ZN9rocsparseL22bsrxmvn_general_kernelILj1024ELj32EfiiaafEEv20rocsparse_direction_NS_24const_host_device_scalarIT1_EET3_PKS5_PKT2_SA_S7_PKT4_S5_PKT5_S4_PT6_21rocsparse_index_base_b.uses_flat_scratch, 0
	.set _ZN9rocsparseL22bsrxmvn_general_kernelILj1024ELj32EfiiaafEEv20rocsparse_direction_NS_24const_host_device_scalarIT1_EET3_PKS5_PKT2_SA_S7_PKT4_S5_PKT5_S4_PT6_21rocsparse_index_base_b.has_dyn_sized_stack, 0
	.set _ZN9rocsparseL22bsrxmvn_general_kernelILj1024ELj32EfiiaafEEv20rocsparse_direction_NS_24const_host_device_scalarIT1_EET3_PKS5_PKT2_SA_S7_PKT4_S5_PKT5_S4_PT6_21rocsparse_index_base_b.has_recursion, 0
	.set _ZN9rocsparseL22bsrxmvn_general_kernelILj1024ELj32EfiiaafEEv20rocsparse_direction_NS_24const_host_device_scalarIT1_EET3_PKS5_PKT2_SA_S7_PKT4_S5_PKT5_S4_PT6_21rocsparse_index_base_b.has_indirect_call, 0
	.section	.AMDGPU.csdata,"",@progbits
; Kernel info:
; codeLenInByte = 1140
; TotalNumSgprs: 34
; NumVgprs: 23
; ScratchSize: 0
; MemoryBound: 0
; FloatMode: 240
; IeeeMode: 1
; LDSByteSize: 0 bytes/workgroup (compile time only)
; SGPRBlocks: 0
; VGPRBlocks: 2
; NumSGPRsForWavesPerEU: 34
; NumVGPRsForWavesPerEU: 23
; Occupancy: 16
; WaveLimiterHint : 1
; COMPUTE_PGM_RSRC2:SCRATCH_EN: 0
; COMPUTE_PGM_RSRC2:USER_SGPR: 6
; COMPUTE_PGM_RSRC2:TRAP_HANDLER: 0
; COMPUTE_PGM_RSRC2:TGID_X_EN: 1
; COMPUTE_PGM_RSRC2:TGID_Y_EN: 0
; COMPUTE_PGM_RSRC2:TGID_Z_EN: 0
; COMPUTE_PGM_RSRC2:TIDIG_COMP_CNT: 0
	.section	.text._ZN9rocsparseL22bsrxmvn_general_kernelILj64ELj8EfliaafEEv20rocsparse_direction_NS_24const_host_device_scalarIT1_EET3_PKS5_PKT2_SA_S7_PKT4_S5_PKT5_S4_PT6_21rocsparse_index_base_b,"axG",@progbits,_ZN9rocsparseL22bsrxmvn_general_kernelILj64ELj8EfliaafEEv20rocsparse_direction_NS_24const_host_device_scalarIT1_EET3_PKS5_PKT2_SA_S7_PKT4_S5_PKT5_S4_PT6_21rocsparse_index_base_b,comdat
	.globl	_ZN9rocsparseL22bsrxmvn_general_kernelILj64ELj8EfliaafEEv20rocsparse_direction_NS_24const_host_device_scalarIT1_EET3_PKS5_PKT2_SA_S7_PKT4_S5_PKT5_S4_PT6_21rocsparse_index_base_b ; -- Begin function _ZN9rocsparseL22bsrxmvn_general_kernelILj64ELj8EfliaafEEv20rocsparse_direction_NS_24const_host_device_scalarIT1_EET3_PKS5_PKT2_SA_S7_PKT4_S5_PKT5_S4_PT6_21rocsparse_index_base_b
	.p2align	8
	.type	_ZN9rocsparseL22bsrxmvn_general_kernelILj64ELj8EfliaafEEv20rocsparse_direction_NS_24const_host_device_scalarIT1_EET3_PKS5_PKT2_SA_S7_PKT4_S5_PKT5_S4_PT6_21rocsparse_index_base_b,@function
_ZN9rocsparseL22bsrxmvn_general_kernelILj64ELj8EfliaafEEv20rocsparse_direction_NS_24const_host_device_scalarIT1_EET3_PKS5_PKT2_SA_S7_PKT4_S5_PKT5_S4_PT6_21rocsparse_index_base_b: ; @_ZN9rocsparseL22bsrxmvn_general_kernelILj64ELj8EfliaafEEv20rocsparse_direction_NS_24const_host_device_scalarIT1_EET3_PKS5_PKT2_SA_S7_PKT4_S5_PKT5_S4_PT6_21rocsparse_index_base_b
; %bb.0:
	s_clause 0x2
	s_load_dwordx2 s[2:3], s[4:5], 0x60
	s_load_dwordx2 s[16:17], s[4:5], 0x8
	;; [unrolled: 1-line block ×3, first 2 shown]
	s_waitcnt lgkmcnt(0)
	s_bitcmp1_b32 s3, 0
	s_cselect_b32 s0, -1, 0
	s_and_b32 vcc_lo, exec_lo, s0
	s_xor_b32 s0, s0, -1
	s_cbranch_vccnz .LBB48_2
; %bb.1:
	s_load_dword s16, s[16:17], 0x0
.LBB48_2:
	s_andn2_b32 vcc_lo, exec_lo, s0
	s_cbranch_vccnz .LBB48_4
; %bb.3:
	s_load_dword s18, s[18:19], 0x0
.LBB48_4:
	s_waitcnt lgkmcnt(0)
	v_cmp_neq_f32_e64 s0, s16, 0
	v_cmp_neq_f32_e64 s1, s18, 1.0
	s_or_b32 s0, s0, s1
	s_andn2_b32 vcc_lo, exec_lo, s0
	s_cbranch_vccnz .LBB48_26
; %bb.5:
	s_load_dwordx2 s[0:1], s[4:5], 0x18
	s_waitcnt lgkmcnt(0)
	s_cmp_eq_u64 s[0:1], 0
	s_cbranch_scc1 .LBB48_7
; %bb.6:
	s_ashr_i32 s7, s6, 31
	s_lshl_b64 s[6:7], s[6:7], 2
	s_add_u32 s0, s0, s6
	s_addc_u32 s1, s1, s7
	s_load_dword s0, s[0:1], 0x0
	s_waitcnt lgkmcnt(0)
	s_sub_i32 s6, s0, s2
.LBB48_7:
	s_load_dword s3, s[4:5], 0x40
	v_lshrrev_b32_e32 v1, 3, v0
	s_mov_b32 s0, exec_lo
	s_waitcnt lgkmcnt(0)
	v_cmpx_gt_i32_e64 s3, v1
	s_cbranch_execz .LBB48_26
; %bb.8:
	s_load_dwordx8 s[8:15], s[4:5], 0x20
	s_ashr_i32 s7, s6, 31
	s_load_dword s28, s[4:5], 0x0
	s_lshl_b64 s[0:1], s[6:7], 3
	v_mbcnt_lo_u32_b32 v2, -1, 0
	v_and_b32_e32 v3, 7, v0
	s_mul_hi_u32 s19, s3, s3
	s_mul_i32 s22, s3, s3
	v_mul_lo_u32 v0, s3, v1
	v_xor_b32_e32 v5, 4, v2
	v_xor_b32_e32 v6, 2, v2
	;; [unrolled: 1-line block ×3, first 2 shown]
	v_mul_lo_u32 v11, s3, v3
	v_cmp_eq_f32_e64 s23, s18, 0
	v_cmp_gt_i32_e32 vcc_lo, 32, v5
	v_mov_b32_e32 v4, 0
	s_mov_b32 s17, 0
	v_cndmask_b32_e32 v5, v2, v5, vcc_lo
	s_waitcnt lgkmcnt(0)
	s_add_u32 s24, s8, s0
	s_addc_u32 s25, s9, s1
	v_cmp_gt_i32_e32 vcc_lo, 32, v6
	s_load_dwordx2 s[26:27], s[24:25], 0x0
	s_clause 0x1
	s_load_dwordx2 s[8:9], s[4:5], 0x58
	s_load_dwordx2 s[20:21], s[4:5], 0x48
	v_lshlrev_b32_e32 v12, 2, v5
	v_cndmask_b32_e32 v6, v2, v6, vcc_lo
	v_cmp_gt_i32_e32 vcc_lo, 32, v7
	v_lshlrev_b32_e32 v13, 2, v6
	v_cndmask_b32_e32 v2, v2, v7, vcc_lo
	v_lshlrev_b32_e32 v14, 2, v2
	s_waitcnt lgkmcnt(0)
	s_sub_u32 s4, s26, s2
	s_subb_u32 s5, s27, 0
	s_add_u32 s7, s24, 8
	s_addc_u32 s25, s25, 0
	s_add_u32 s0, s10, s0
	s_addc_u32 s1, s11, s1
	s_cmp_eq_u64 s[10:11], 0
	s_mul_i32 s24, s6, s3
	s_cselect_b32 s1, s25, s1
	s_cselect_b32 s0, s7, s0
	s_mul_i32 s29, s4, s19
	s_load_dwordx2 s[10:11], s[0:1], 0x0
	s_mul_hi_u32 s30, s4, s22
	v_cmp_gt_u32_e64 s0, s3, v3
	v_cmp_eq_u32_e64 s1, 7, v3
	s_mul_i32 s31, s5, s22
	s_waitcnt lgkmcnt(0)
	s_sub_u32 s6, s10, s2
	s_subb_u32 s7, s11, 0
	s_cmp_lg_u32 s28, 0
	v_cmp_lt_i64_e64 s25, s[26:27], s[10:11]
	s_cselect_b32 s26, -1, 0
	s_add_i32 s10, s30, s29
	s_mul_i32 s27, s4, s22
	s_add_i32 s28, s10, s31
	s_lshl_b32 s29, s3, 3
	s_branch .LBB48_10
.LBB48_9:                               ;   in Loop: Header=BB48_10 Depth=1
	s_or_b32 exec_lo, exec_lo, s10
	v_add_nc_u32_e32 v1, 8, v1
	v_add_nc_u32_e32 v0, s29, v0
	v_cmp_le_i32_e32 vcc_lo, s3, v1
	s_or_b32 s17, vcc_lo, s17
	s_andn2_b32 exec_lo, exec_lo, s17
	s_cbranch_execz .LBB48_26
.LBB48_10:                              ; =>This Loop Header: Depth=1
                                        ;     Child Loop BB48_14 Depth 2
                                        ;       Child Loop BB48_17 Depth 3
	v_mov_b32_e32 v15, 0
	s_andn2_b32 vcc_lo, exec_lo, s25
	s_cbranch_vccnz .LBB48_21
; %bb.11:                               ;   in Loop: Header=BB48_10 Depth=1
	s_waitcnt lgkmcnt(0)
	v_ashrrev_i32_e32 v5, 31, v0
	v_add_co_u32 v16, vcc_lo, s27, v0
	v_ashrrev_i32_e32 v2, 31, v1
	v_mov_b32_e32 v15, 0
	v_add_co_ci_u32_e64 v17, null, s28, v5, vcc_lo
	s_mov_b64 s[10:11], s[4:5]
	s_branch .LBB48_14
.LBB48_12:                              ;   in Loop: Header=BB48_14 Depth=2
	s_inst_prefetch 0x2
	s_or_b32 exec_lo, exec_lo, s31
.LBB48_13:                              ;   in Loop: Header=BB48_14 Depth=2
	s_or_b32 exec_lo, exec_lo, s30
	s_add_u32 s10, s10, 1
	s_addc_u32 s11, s11, 0
	v_add_co_u32 v16, vcc_lo, v16, s22
	v_cmp_ge_i64_e64 s30, s[10:11], s[6:7]
	v_add_co_ci_u32_e64 v17, null, s19, v17, vcc_lo
	s_and_b32 vcc_lo, exec_lo, s30
	s_cbranch_vccnz .LBB48_21
.LBB48_14:                              ;   Parent Loop BB48_10 Depth=1
                                        ; =>  This Loop Header: Depth=2
                                        ;       Child Loop BB48_17 Depth 3
	s_and_saveexec_b32 s30, s0
	s_cbranch_execz .LBB48_13
; %bb.15:                               ;   in Loop: Header=BB48_14 Depth=2
	s_lshl_b64 s[34:35], s[10:11], 2
	v_mad_u64_u32 v[5:6], null, s22, s10, v[1:2]
	s_add_u32 s34, s12, s34
	s_addc_u32 s35, s13, s35
	s_mul_i32 s33, s19, s10
	s_load_dword s31, s[34:35], 0x0
	s_mul_i32 s34, s22, s11
	v_mov_b32_e32 v8, v4
	v_mov_b32_e32 v18, v11
	;; [unrolled: 1-line block ×3, first 2 shown]
	v_add3_u32 v6, s34, s33, v6
	s_waitcnt lgkmcnt(0)
	s_sub_i32 s31, s31, s2
	s_mul_i32 s33, s31, s3
	s_mov_b32 s31, 0
	s_inst_prefetch 0x1
	s_branch .LBB48_17
	.p2align	6
.LBB48_16:                              ;   in Loop: Header=BB48_17 Depth=3
	v_add_nc_u32_e32 v19, s33, v7
	v_add_co_u32 v9, vcc_lo, s14, v9
	v_add_co_ci_u32_e64 v10, null, s15, v10, vcc_lo
	v_ashrrev_i32_e32 v20, 31, v19
	v_add_co_u32 v19, vcc_lo, s20, v19
	v_add_nc_u32_e32 v18, s29, v18
	v_add_co_ci_u32_e64 v20, null, s21, v20, vcc_lo
	v_add_co_u32 v7, vcc_lo, v7, 8
	global_load_sbyte v9, v[9:10], off
	global_load_sbyte v10, v[19:20], off
	v_add_co_ci_u32_e64 v8, null, 0, v8, vcc_lo
	v_cmp_le_i32_e32 vcc_lo, s3, v7
	s_or_b32 s31, vcc_lo, s31
	s_waitcnt vmcnt(1)
	v_cvt_f32_i32_e32 v9, v9
	s_waitcnt vmcnt(0)
	v_cvt_f32_i32_e32 v10, v10
	v_fmac_f32_e32 v15, v9, v10
	s_andn2_b32 exec_lo, exec_lo, s31
	s_cbranch_execz .LBB48_12
.LBB48_17:                              ;   Parent Loop BB48_10 Depth=1
                                        ;     Parent Loop BB48_14 Depth=2
                                        ; =>    This Inner Loop Header: Depth=3
	s_and_b32 vcc_lo, exec_lo, s26
	s_cbranch_vccz .LBB48_19
; %bb.18:                               ;   in Loop: Header=BB48_17 Depth=3
	v_ashrrev_i32_e32 v10, 31, v18
	v_add_co_u32 v9, vcc_lo, v5, v18
	v_add_co_ci_u32_e64 v10, null, v6, v10, vcc_lo
	s_cbranch_execnz .LBB48_16
	s_branch .LBB48_20
.LBB48_19:                              ;   in Loop: Header=BB48_17 Depth=3
                                        ; implicit-def: $vgpr9_vgpr10
.LBB48_20:                              ;   in Loop: Header=BB48_17 Depth=3
	v_add_co_u32 v9, vcc_lo, v16, v7
	v_add_co_ci_u32_e64 v10, null, v17, v8, vcc_lo
	s_branch .LBB48_16
.LBB48_21:                              ;   in Loop: Header=BB48_10 Depth=1
	ds_bpermute_b32 v2, v12, v15
	s_waitcnt lgkmcnt(0)
	v_add_f32_e32 v2, v15, v2
	ds_bpermute_b32 v5, v13, v2
	s_waitcnt lgkmcnt(0)
	v_add_f32_e32 v2, v2, v5
	ds_bpermute_b32 v5, v14, v2
	s_and_saveexec_b32 s10, s1
	s_cbranch_execz .LBB48_9
; %bb.22:                               ;   in Loop: Header=BB48_10 Depth=1
	s_waitcnt lgkmcnt(0)
	v_add_f32_e32 v2, v2, v5
	v_add_nc_u32_e32 v5, s24, v1
	s_and_b32 vcc_lo, exec_lo, s23
	v_mul_f32_e32 v2, s16, v2
	v_ashrrev_i32_e32 v6, 31, v5
	s_cbranch_vccz .LBB48_24
; %bb.23:                               ;   in Loop: Header=BB48_10 Depth=1
	v_lshlrev_b64 v[7:8], 2, v[5:6]
	v_add_co_u32 v7, vcc_lo, s8, v7
	v_add_co_ci_u32_e64 v8, null, s9, v8, vcc_lo
	global_store_dword v[7:8], v2, off
	s_cbranch_execnz .LBB48_9
	s_branch .LBB48_25
.LBB48_24:                              ;   in Loop: Header=BB48_10 Depth=1
.LBB48_25:                              ;   in Loop: Header=BB48_10 Depth=1
	v_lshlrev_b64 v[5:6], 2, v[5:6]
	v_add_co_u32 v5, vcc_lo, s8, v5
	v_add_co_ci_u32_e64 v6, null, s9, v6, vcc_lo
	global_load_dword v7, v[5:6], off
	s_waitcnt vmcnt(0)
	v_fmac_f32_e32 v2, s18, v7
	global_store_dword v[5:6], v2, off
	s_branch .LBB48_9
.LBB48_26:
	s_endpgm
	.section	.rodata,"a",@progbits
	.p2align	6, 0x0
	.amdhsa_kernel _ZN9rocsparseL22bsrxmvn_general_kernelILj64ELj8EfliaafEEv20rocsparse_direction_NS_24const_host_device_scalarIT1_EET3_PKS5_PKT2_SA_S7_PKT4_S5_PKT5_S4_PT6_21rocsparse_index_base_b
		.amdhsa_group_segment_fixed_size 0
		.amdhsa_private_segment_fixed_size 0
		.amdhsa_kernarg_size 104
		.amdhsa_user_sgpr_count 6
		.amdhsa_user_sgpr_private_segment_buffer 1
		.amdhsa_user_sgpr_dispatch_ptr 0
		.amdhsa_user_sgpr_queue_ptr 0
		.amdhsa_user_sgpr_kernarg_segment_ptr 1
		.amdhsa_user_sgpr_dispatch_id 0
		.amdhsa_user_sgpr_flat_scratch_init 0
		.amdhsa_user_sgpr_private_segment_size 0
		.amdhsa_wavefront_size32 1
		.amdhsa_uses_dynamic_stack 0
		.amdhsa_system_sgpr_private_segment_wavefront_offset 0
		.amdhsa_system_sgpr_workgroup_id_x 1
		.amdhsa_system_sgpr_workgroup_id_y 0
		.amdhsa_system_sgpr_workgroup_id_z 0
		.amdhsa_system_sgpr_workgroup_info 0
		.amdhsa_system_vgpr_workitem_id 0
		.amdhsa_next_free_vgpr 21
		.amdhsa_next_free_sgpr 36
		.amdhsa_reserve_vcc 1
		.amdhsa_reserve_flat_scratch 0
		.amdhsa_float_round_mode_32 0
		.amdhsa_float_round_mode_16_64 0
		.amdhsa_float_denorm_mode_32 3
		.amdhsa_float_denorm_mode_16_64 3
		.amdhsa_dx10_clamp 1
		.amdhsa_ieee_mode 1
		.amdhsa_fp16_overflow 0
		.amdhsa_workgroup_processor_mode 1
		.amdhsa_memory_ordered 1
		.amdhsa_forward_progress 1
		.amdhsa_shared_vgpr_count 0
		.amdhsa_exception_fp_ieee_invalid_op 0
		.amdhsa_exception_fp_denorm_src 0
		.amdhsa_exception_fp_ieee_div_zero 0
		.amdhsa_exception_fp_ieee_overflow 0
		.amdhsa_exception_fp_ieee_underflow 0
		.amdhsa_exception_fp_ieee_inexact 0
		.amdhsa_exception_int_div_zero 0
	.end_amdhsa_kernel
	.section	.text._ZN9rocsparseL22bsrxmvn_general_kernelILj64ELj8EfliaafEEv20rocsparse_direction_NS_24const_host_device_scalarIT1_EET3_PKS5_PKT2_SA_S7_PKT4_S5_PKT5_S4_PT6_21rocsparse_index_base_b,"axG",@progbits,_ZN9rocsparseL22bsrxmvn_general_kernelILj64ELj8EfliaafEEv20rocsparse_direction_NS_24const_host_device_scalarIT1_EET3_PKS5_PKT2_SA_S7_PKT4_S5_PKT5_S4_PT6_21rocsparse_index_base_b,comdat
.Lfunc_end48:
	.size	_ZN9rocsparseL22bsrxmvn_general_kernelILj64ELj8EfliaafEEv20rocsparse_direction_NS_24const_host_device_scalarIT1_EET3_PKS5_PKT2_SA_S7_PKT4_S5_PKT5_S4_PT6_21rocsparse_index_base_b, .Lfunc_end48-_ZN9rocsparseL22bsrxmvn_general_kernelILj64ELj8EfliaafEEv20rocsparse_direction_NS_24const_host_device_scalarIT1_EET3_PKS5_PKT2_SA_S7_PKT4_S5_PKT5_S4_PT6_21rocsparse_index_base_b
                                        ; -- End function
	.set _ZN9rocsparseL22bsrxmvn_general_kernelILj64ELj8EfliaafEEv20rocsparse_direction_NS_24const_host_device_scalarIT1_EET3_PKS5_PKT2_SA_S7_PKT4_S5_PKT5_S4_PT6_21rocsparse_index_base_b.num_vgpr, 21
	.set _ZN9rocsparseL22bsrxmvn_general_kernelILj64ELj8EfliaafEEv20rocsparse_direction_NS_24const_host_device_scalarIT1_EET3_PKS5_PKT2_SA_S7_PKT4_S5_PKT5_S4_PT6_21rocsparse_index_base_b.num_agpr, 0
	.set _ZN9rocsparseL22bsrxmvn_general_kernelILj64ELj8EfliaafEEv20rocsparse_direction_NS_24const_host_device_scalarIT1_EET3_PKS5_PKT2_SA_S7_PKT4_S5_PKT5_S4_PT6_21rocsparse_index_base_b.numbered_sgpr, 36
	.set _ZN9rocsparseL22bsrxmvn_general_kernelILj64ELj8EfliaafEEv20rocsparse_direction_NS_24const_host_device_scalarIT1_EET3_PKS5_PKT2_SA_S7_PKT4_S5_PKT5_S4_PT6_21rocsparse_index_base_b.num_named_barrier, 0
	.set _ZN9rocsparseL22bsrxmvn_general_kernelILj64ELj8EfliaafEEv20rocsparse_direction_NS_24const_host_device_scalarIT1_EET3_PKS5_PKT2_SA_S7_PKT4_S5_PKT5_S4_PT6_21rocsparse_index_base_b.private_seg_size, 0
	.set _ZN9rocsparseL22bsrxmvn_general_kernelILj64ELj8EfliaafEEv20rocsparse_direction_NS_24const_host_device_scalarIT1_EET3_PKS5_PKT2_SA_S7_PKT4_S5_PKT5_S4_PT6_21rocsparse_index_base_b.uses_vcc, 1
	.set _ZN9rocsparseL22bsrxmvn_general_kernelILj64ELj8EfliaafEEv20rocsparse_direction_NS_24const_host_device_scalarIT1_EET3_PKS5_PKT2_SA_S7_PKT4_S5_PKT5_S4_PT6_21rocsparse_index_base_b.uses_flat_scratch, 0
	.set _ZN9rocsparseL22bsrxmvn_general_kernelILj64ELj8EfliaafEEv20rocsparse_direction_NS_24const_host_device_scalarIT1_EET3_PKS5_PKT2_SA_S7_PKT4_S5_PKT5_S4_PT6_21rocsparse_index_base_b.has_dyn_sized_stack, 0
	.set _ZN9rocsparseL22bsrxmvn_general_kernelILj64ELj8EfliaafEEv20rocsparse_direction_NS_24const_host_device_scalarIT1_EET3_PKS5_PKT2_SA_S7_PKT4_S5_PKT5_S4_PT6_21rocsparse_index_base_b.has_recursion, 0
	.set _ZN9rocsparseL22bsrxmvn_general_kernelILj64ELj8EfliaafEEv20rocsparse_direction_NS_24const_host_device_scalarIT1_EET3_PKS5_PKT2_SA_S7_PKT4_S5_PKT5_S4_PT6_21rocsparse_index_base_b.has_indirect_call, 0
	.section	.AMDGPU.csdata,"",@progbits
; Kernel info:
; codeLenInByte = 1044
; TotalNumSgprs: 38
; NumVgprs: 21
; ScratchSize: 0
; MemoryBound: 0
; FloatMode: 240
; IeeeMode: 1
; LDSByteSize: 0 bytes/workgroup (compile time only)
; SGPRBlocks: 0
; VGPRBlocks: 2
; NumSGPRsForWavesPerEU: 38
; NumVGPRsForWavesPerEU: 21
; Occupancy: 16
; WaveLimiterHint : 1
; COMPUTE_PGM_RSRC2:SCRATCH_EN: 0
; COMPUTE_PGM_RSRC2:USER_SGPR: 6
; COMPUTE_PGM_RSRC2:TRAP_HANDLER: 0
; COMPUTE_PGM_RSRC2:TGID_X_EN: 1
; COMPUTE_PGM_RSRC2:TGID_Y_EN: 0
; COMPUTE_PGM_RSRC2:TGID_Z_EN: 0
; COMPUTE_PGM_RSRC2:TIDIG_COMP_CNT: 0
	.section	.text._ZN9rocsparseL22bsrxmvn_general_kernelILj256ELj16EfliaafEEv20rocsparse_direction_NS_24const_host_device_scalarIT1_EET3_PKS5_PKT2_SA_S7_PKT4_S5_PKT5_S4_PT6_21rocsparse_index_base_b,"axG",@progbits,_ZN9rocsparseL22bsrxmvn_general_kernelILj256ELj16EfliaafEEv20rocsparse_direction_NS_24const_host_device_scalarIT1_EET3_PKS5_PKT2_SA_S7_PKT4_S5_PKT5_S4_PT6_21rocsparse_index_base_b,comdat
	.globl	_ZN9rocsparseL22bsrxmvn_general_kernelILj256ELj16EfliaafEEv20rocsparse_direction_NS_24const_host_device_scalarIT1_EET3_PKS5_PKT2_SA_S7_PKT4_S5_PKT5_S4_PT6_21rocsparse_index_base_b ; -- Begin function _ZN9rocsparseL22bsrxmvn_general_kernelILj256ELj16EfliaafEEv20rocsparse_direction_NS_24const_host_device_scalarIT1_EET3_PKS5_PKT2_SA_S7_PKT4_S5_PKT5_S4_PT6_21rocsparse_index_base_b
	.p2align	8
	.type	_ZN9rocsparseL22bsrxmvn_general_kernelILj256ELj16EfliaafEEv20rocsparse_direction_NS_24const_host_device_scalarIT1_EET3_PKS5_PKT2_SA_S7_PKT4_S5_PKT5_S4_PT6_21rocsparse_index_base_b,@function
_ZN9rocsparseL22bsrxmvn_general_kernelILj256ELj16EfliaafEEv20rocsparse_direction_NS_24const_host_device_scalarIT1_EET3_PKS5_PKT2_SA_S7_PKT4_S5_PKT5_S4_PT6_21rocsparse_index_base_b: ; @_ZN9rocsparseL22bsrxmvn_general_kernelILj256ELj16EfliaafEEv20rocsparse_direction_NS_24const_host_device_scalarIT1_EET3_PKS5_PKT2_SA_S7_PKT4_S5_PKT5_S4_PT6_21rocsparse_index_base_b
; %bb.0:
	s_clause 0x2
	s_load_dwordx2 s[2:3], s[4:5], 0x60
	s_load_dwordx2 s[16:17], s[4:5], 0x8
	;; [unrolled: 1-line block ×3, first 2 shown]
	s_waitcnt lgkmcnt(0)
	s_bitcmp1_b32 s3, 0
	s_cselect_b32 s0, -1, 0
	s_and_b32 vcc_lo, exec_lo, s0
	s_xor_b32 s0, s0, -1
	s_cbranch_vccnz .LBB49_2
; %bb.1:
	s_load_dword s16, s[16:17], 0x0
.LBB49_2:
	s_andn2_b32 vcc_lo, exec_lo, s0
	s_cbranch_vccnz .LBB49_4
; %bb.3:
	s_load_dword s18, s[18:19], 0x0
.LBB49_4:
	s_waitcnt lgkmcnt(0)
	v_cmp_neq_f32_e64 s0, s16, 0
	v_cmp_neq_f32_e64 s1, s18, 1.0
	s_or_b32 s0, s0, s1
	s_andn2_b32 vcc_lo, exec_lo, s0
	s_cbranch_vccnz .LBB49_26
; %bb.5:
	s_load_dwordx2 s[0:1], s[4:5], 0x18
	s_waitcnt lgkmcnt(0)
	s_cmp_eq_u64 s[0:1], 0
	s_cbranch_scc1 .LBB49_7
; %bb.6:
	s_ashr_i32 s7, s6, 31
	s_lshl_b64 s[6:7], s[6:7], 2
	s_add_u32 s0, s0, s6
	s_addc_u32 s1, s1, s7
	s_load_dword s0, s[0:1], 0x0
	s_waitcnt lgkmcnt(0)
	s_sub_i32 s6, s0, s2
.LBB49_7:
	s_load_dword s3, s[4:5], 0x40
	v_lshrrev_b32_e32 v1, 4, v0
	s_mov_b32 s0, exec_lo
	s_waitcnt lgkmcnt(0)
	v_cmpx_gt_i32_e64 s3, v1
	s_cbranch_execz .LBB49_26
; %bb.8:
	s_load_dwordx8 s[8:15], s[4:5], 0x20
	s_ashr_i32 s7, s6, 31
	v_mbcnt_lo_u32_b32 v2, -1, 0
	s_lshl_b64 s[28:29], s[6:7], 3
	s_load_dword s27, s[4:5], 0x0
	s_mul_i32 s26, s6, s3
	v_and_b32_e32 v3, 15, v0
	v_xor_b32_e32 v5, 8, v2
	v_xor_b32_e32 v6, 4, v2
	;; [unrolled: 1-line block ×4, first 2 shown]
	s_mul_hi_u32 s19, s3, s3
	v_cmp_gt_i32_e32 vcc_lo, 32, v5
	s_mul_i32 s24, s3, s3
	v_mul_lo_u32 v0, s3, v1
	v_mul_lo_u32 v11, s3, v3
	v_cmp_eq_f32_e64 s25, s18, 0
	v_cndmask_b32_e32 v5, v2, v5, vcc_lo
	v_cmp_gt_i32_e32 vcc_lo, 32, v6
	v_mov_b32_e32 v4, 0
	s_waitcnt lgkmcnt(0)
	s_add_u32 s30, s8, s28
	s_addc_u32 s31, s9, s29
	v_cmp_gt_u32_e64 s0, s3, v3
	s_load_dwordx2 s[22:23], s[30:31], 0x0
	s_clause 0x1
	s_load_dwordx2 s[8:9], s[4:5], 0x58
	s_load_dwordx2 s[20:21], s[4:5], 0x48
	v_cndmask_b32_e32 v6, v2, v6, vcc_lo
	v_cmp_gt_i32_e32 vcc_lo, 32, v7
	v_lshlrev_b32_e32 v12, 2, v5
	s_mov_b32 s17, 0
	v_lshlrev_b32_e32 v13, 2, v6
	v_cndmask_b32_e32 v7, v2, v7, vcc_lo
	v_cmp_gt_i32_e32 vcc_lo, 32, v8
	v_lshlrev_b32_e32 v14, 2, v7
	v_cndmask_b32_e32 v2, v2, v8, vcc_lo
	v_lshlrev_b32_e32 v15, 2, v2
	s_waitcnt lgkmcnt(0)
	s_sub_u32 s4, s22, s2
	s_subb_u32 s5, s23, 0
	s_add_u32 s1, s30, 8
	s_addc_u32 s6, s31, 0
	s_add_u32 s28, s10, s28
	s_addc_u32 s7, s11, s29
	s_cmp_eq_u64 s[10:11], 0
	s_mul_hi_u32 s29, s4, s24
	s_cselect_b32 s7, s6, s7
	s_cselect_b32 s6, s1, s28
	s_mul_i32 s28, s4, s19
	s_load_dwordx2 s[10:11], s[6:7], 0x0
	v_cmp_eq_u32_e64 s1, 15, v3
	s_mul_i32 s30, s5, s24
	s_waitcnt lgkmcnt(0)
	s_sub_u32 s6, s10, s2
	s_subb_u32 s7, s11, 0
	s_cmp_lg_u32 s27, 0
	v_cmp_lt_i64_e64 s22, s[22:23], s[10:11]
	s_cselect_b32 s23, -1, 0
	s_add_i32 s10, s29, s28
	s_mul_i32 s27, s4, s24
	s_add_i32 s28, s10, s30
	s_lshl_b32 s29, s3, 4
	s_branch .LBB49_10
.LBB49_9:                               ;   in Loop: Header=BB49_10 Depth=1
	s_or_b32 exec_lo, exec_lo, s10
	v_add_nc_u32_e32 v1, 16, v1
	v_add_nc_u32_e32 v0, s29, v0
	v_cmp_le_i32_e32 vcc_lo, s3, v1
	s_or_b32 s17, vcc_lo, s17
	s_andn2_b32 exec_lo, exec_lo, s17
	s_cbranch_execz .LBB49_26
.LBB49_10:                              ; =>This Loop Header: Depth=1
                                        ;     Child Loop BB49_14 Depth 2
                                        ;       Child Loop BB49_17 Depth 3
	v_mov_b32_e32 v16, 0
	s_andn2_b32 vcc_lo, exec_lo, s22
	s_cbranch_vccnz .LBB49_21
; %bb.11:                               ;   in Loop: Header=BB49_10 Depth=1
	s_waitcnt lgkmcnt(0)
	v_ashrrev_i32_e32 v5, 31, v0
	v_add_co_u32 v17, vcc_lo, s27, v0
	v_ashrrev_i32_e32 v2, 31, v1
	v_mov_b32_e32 v16, 0
	v_add_co_ci_u32_e64 v18, null, s28, v5, vcc_lo
	s_mov_b64 s[10:11], s[4:5]
	s_branch .LBB49_14
.LBB49_12:                              ;   in Loop: Header=BB49_14 Depth=2
	s_inst_prefetch 0x2
	s_or_b32 exec_lo, exec_lo, s31
.LBB49_13:                              ;   in Loop: Header=BB49_14 Depth=2
	s_or_b32 exec_lo, exec_lo, s30
	s_add_u32 s10, s10, 1
	s_addc_u32 s11, s11, 0
	v_add_co_u32 v17, vcc_lo, v17, s24
	v_cmp_ge_i64_e64 s30, s[10:11], s[6:7]
	v_add_co_ci_u32_e64 v18, null, s19, v18, vcc_lo
	s_and_b32 vcc_lo, exec_lo, s30
	s_cbranch_vccnz .LBB49_21
.LBB49_14:                              ;   Parent Loop BB49_10 Depth=1
                                        ; =>  This Loop Header: Depth=2
                                        ;       Child Loop BB49_17 Depth 3
	s_and_saveexec_b32 s30, s0
	s_cbranch_execz .LBB49_13
; %bb.15:                               ;   in Loop: Header=BB49_14 Depth=2
	s_lshl_b64 s[34:35], s[10:11], 2
	v_mad_u64_u32 v[5:6], null, s24, s10, v[1:2]
	s_add_u32 s34, s12, s34
	s_addc_u32 s35, s13, s35
	s_mul_i32 s33, s19, s10
	s_load_dword s31, s[34:35], 0x0
	s_mul_i32 s34, s24, s11
	v_mov_b32_e32 v8, v4
	v_mov_b32_e32 v19, v11
	;; [unrolled: 1-line block ×3, first 2 shown]
	v_add3_u32 v6, s34, s33, v6
	s_waitcnt lgkmcnt(0)
	s_sub_i32 s31, s31, s2
	s_mul_i32 s33, s31, s3
	s_mov_b32 s31, 0
	s_inst_prefetch 0x1
	s_branch .LBB49_17
	.p2align	6
.LBB49_16:                              ;   in Loop: Header=BB49_17 Depth=3
	v_add_nc_u32_e32 v20, s33, v7
	v_add_co_u32 v9, vcc_lo, s14, v9
	v_add_co_ci_u32_e64 v10, null, s15, v10, vcc_lo
	v_ashrrev_i32_e32 v21, 31, v20
	v_add_co_u32 v20, vcc_lo, s20, v20
	v_add_nc_u32_e32 v19, s29, v19
	v_add_co_ci_u32_e64 v21, null, s21, v21, vcc_lo
	v_add_co_u32 v7, vcc_lo, v7, 16
	global_load_sbyte v9, v[9:10], off
	global_load_sbyte v10, v[20:21], off
	v_add_co_ci_u32_e64 v8, null, 0, v8, vcc_lo
	v_cmp_le_i32_e32 vcc_lo, s3, v7
	s_or_b32 s31, vcc_lo, s31
	s_waitcnt vmcnt(1)
	v_cvt_f32_i32_e32 v9, v9
	s_waitcnt vmcnt(0)
	v_cvt_f32_i32_e32 v10, v10
	v_fmac_f32_e32 v16, v9, v10
	s_andn2_b32 exec_lo, exec_lo, s31
	s_cbranch_execz .LBB49_12
.LBB49_17:                              ;   Parent Loop BB49_10 Depth=1
                                        ;     Parent Loop BB49_14 Depth=2
                                        ; =>    This Inner Loop Header: Depth=3
	s_and_b32 vcc_lo, exec_lo, s23
	s_cbranch_vccz .LBB49_19
; %bb.18:                               ;   in Loop: Header=BB49_17 Depth=3
	v_ashrrev_i32_e32 v10, 31, v19
	v_add_co_u32 v9, vcc_lo, v5, v19
	v_add_co_ci_u32_e64 v10, null, v6, v10, vcc_lo
	s_cbranch_execnz .LBB49_16
	s_branch .LBB49_20
.LBB49_19:                              ;   in Loop: Header=BB49_17 Depth=3
                                        ; implicit-def: $vgpr9_vgpr10
.LBB49_20:                              ;   in Loop: Header=BB49_17 Depth=3
	v_add_co_u32 v9, vcc_lo, v17, v7
	v_add_co_ci_u32_e64 v10, null, v18, v8, vcc_lo
	s_branch .LBB49_16
.LBB49_21:                              ;   in Loop: Header=BB49_10 Depth=1
	ds_bpermute_b32 v2, v12, v16
	s_waitcnt lgkmcnt(0)
	v_add_f32_e32 v2, v16, v2
	ds_bpermute_b32 v5, v13, v2
	s_waitcnt lgkmcnt(0)
	v_add_f32_e32 v2, v2, v5
	;; [unrolled: 3-line block ×3, first 2 shown]
	ds_bpermute_b32 v5, v15, v2
	s_and_saveexec_b32 s10, s1
	s_cbranch_execz .LBB49_9
; %bb.22:                               ;   in Loop: Header=BB49_10 Depth=1
	s_waitcnt lgkmcnt(0)
	v_add_f32_e32 v2, v2, v5
	v_add_nc_u32_e32 v5, s26, v1
	s_and_b32 vcc_lo, exec_lo, s25
	v_mul_f32_e32 v2, s16, v2
	v_ashrrev_i32_e32 v6, 31, v5
	s_cbranch_vccz .LBB49_24
; %bb.23:                               ;   in Loop: Header=BB49_10 Depth=1
	v_lshlrev_b64 v[7:8], 2, v[5:6]
	v_add_co_u32 v7, vcc_lo, s8, v7
	v_add_co_ci_u32_e64 v8, null, s9, v8, vcc_lo
	global_store_dword v[7:8], v2, off
	s_cbranch_execnz .LBB49_9
	s_branch .LBB49_25
.LBB49_24:                              ;   in Loop: Header=BB49_10 Depth=1
.LBB49_25:                              ;   in Loop: Header=BB49_10 Depth=1
	v_lshlrev_b64 v[5:6], 2, v[5:6]
	v_add_co_u32 v5, vcc_lo, s8, v5
	v_add_co_ci_u32_e64 v6, null, s9, v6, vcc_lo
	global_load_dword v7, v[5:6], off
	s_waitcnt vmcnt(0)
	v_fmac_f32_e32 v2, s18, v7
	global_store_dword v[5:6], v2, off
	s_branch .LBB49_9
.LBB49_26:
	s_endpgm
	.section	.rodata,"a",@progbits
	.p2align	6, 0x0
	.amdhsa_kernel _ZN9rocsparseL22bsrxmvn_general_kernelILj256ELj16EfliaafEEv20rocsparse_direction_NS_24const_host_device_scalarIT1_EET3_PKS5_PKT2_SA_S7_PKT4_S5_PKT5_S4_PT6_21rocsparse_index_base_b
		.amdhsa_group_segment_fixed_size 0
		.amdhsa_private_segment_fixed_size 0
		.amdhsa_kernarg_size 104
		.amdhsa_user_sgpr_count 6
		.amdhsa_user_sgpr_private_segment_buffer 1
		.amdhsa_user_sgpr_dispatch_ptr 0
		.amdhsa_user_sgpr_queue_ptr 0
		.amdhsa_user_sgpr_kernarg_segment_ptr 1
		.amdhsa_user_sgpr_dispatch_id 0
		.amdhsa_user_sgpr_flat_scratch_init 0
		.amdhsa_user_sgpr_private_segment_size 0
		.amdhsa_wavefront_size32 1
		.amdhsa_uses_dynamic_stack 0
		.amdhsa_system_sgpr_private_segment_wavefront_offset 0
		.amdhsa_system_sgpr_workgroup_id_x 1
		.amdhsa_system_sgpr_workgroup_id_y 0
		.amdhsa_system_sgpr_workgroup_id_z 0
		.amdhsa_system_sgpr_workgroup_info 0
		.amdhsa_system_vgpr_workitem_id 0
		.amdhsa_next_free_vgpr 22
		.amdhsa_next_free_sgpr 36
		.amdhsa_reserve_vcc 1
		.amdhsa_reserve_flat_scratch 0
		.amdhsa_float_round_mode_32 0
		.amdhsa_float_round_mode_16_64 0
		.amdhsa_float_denorm_mode_32 3
		.amdhsa_float_denorm_mode_16_64 3
		.amdhsa_dx10_clamp 1
		.amdhsa_ieee_mode 1
		.amdhsa_fp16_overflow 0
		.amdhsa_workgroup_processor_mode 1
		.amdhsa_memory_ordered 1
		.amdhsa_forward_progress 1
		.amdhsa_shared_vgpr_count 0
		.amdhsa_exception_fp_ieee_invalid_op 0
		.amdhsa_exception_fp_denorm_src 0
		.amdhsa_exception_fp_ieee_div_zero 0
		.amdhsa_exception_fp_ieee_overflow 0
		.amdhsa_exception_fp_ieee_underflow 0
		.amdhsa_exception_fp_ieee_inexact 0
		.amdhsa_exception_int_div_zero 0
	.end_amdhsa_kernel
	.section	.text._ZN9rocsparseL22bsrxmvn_general_kernelILj256ELj16EfliaafEEv20rocsparse_direction_NS_24const_host_device_scalarIT1_EET3_PKS5_PKT2_SA_S7_PKT4_S5_PKT5_S4_PT6_21rocsparse_index_base_b,"axG",@progbits,_ZN9rocsparseL22bsrxmvn_general_kernelILj256ELj16EfliaafEEv20rocsparse_direction_NS_24const_host_device_scalarIT1_EET3_PKS5_PKT2_SA_S7_PKT4_S5_PKT5_S4_PT6_21rocsparse_index_base_b,comdat
.Lfunc_end49:
	.size	_ZN9rocsparseL22bsrxmvn_general_kernelILj256ELj16EfliaafEEv20rocsparse_direction_NS_24const_host_device_scalarIT1_EET3_PKS5_PKT2_SA_S7_PKT4_S5_PKT5_S4_PT6_21rocsparse_index_base_b, .Lfunc_end49-_ZN9rocsparseL22bsrxmvn_general_kernelILj256ELj16EfliaafEEv20rocsparse_direction_NS_24const_host_device_scalarIT1_EET3_PKS5_PKT2_SA_S7_PKT4_S5_PKT5_S4_PT6_21rocsparse_index_base_b
                                        ; -- End function
	.set _ZN9rocsparseL22bsrxmvn_general_kernelILj256ELj16EfliaafEEv20rocsparse_direction_NS_24const_host_device_scalarIT1_EET3_PKS5_PKT2_SA_S7_PKT4_S5_PKT5_S4_PT6_21rocsparse_index_base_b.num_vgpr, 22
	.set _ZN9rocsparseL22bsrxmvn_general_kernelILj256ELj16EfliaafEEv20rocsparse_direction_NS_24const_host_device_scalarIT1_EET3_PKS5_PKT2_SA_S7_PKT4_S5_PKT5_S4_PT6_21rocsparse_index_base_b.num_agpr, 0
	.set _ZN9rocsparseL22bsrxmvn_general_kernelILj256ELj16EfliaafEEv20rocsparse_direction_NS_24const_host_device_scalarIT1_EET3_PKS5_PKT2_SA_S7_PKT4_S5_PKT5_S4_PT6_21rocsparse_index_base_b.numbered_sgpr, 36
	.set _ZN9rocsparseL22bsrxmvn_general_kernelILj256ELj16EfliaafEEv20rocsparse_direction_NS_24const_host_device_scalarIT1_EET3_PKS5_PKT2_SA_S7_PKT4_S5_PKT5_S4_PT6_21rocsparse_index_base_b.num_named_barrier, 0
	.set _ZN9rocsparseL22bsrxmvn_general_kernelILj256ELj16EfliaafEEv20rocsparse_direction_NS_24const_host_device_scalarIT1_EET3_PKS5_PKT2_SA_S7_PKT4_S5_PKT5_S4_PT6_21rocsparse_index_base_b.private_seg_size, 0
	.set _ZN9rocsparseL22bsrxmvn_general_kernelILj256ELj16EfliaafEEv20rocsparse_direction_NS_24const_host_device_scalarIT1_EET3_PKS5_PKT2_SA_S7_PKT4_S5_PKT5_S4_PT6_21rocsparse_index_base_b.uses_vcc, 1
	.set _ZN9rocsparseL22bsrxmvn_general_kernelILj256ELj16EfliaafEEv20rocsparse_direction_NS_24const_host_device_scalarIT1_EET3_PKS5_PKT2_SA_S7_PKT4_S5_PKT5_S4_PT6_21rocsparse_index_base_b.uses_flat_scratch, 0
	.set _ZN9rocsparseL22bsrxmvn_general_kernelILj256ELj16EfliaafEEv20rocsparse_direction_NS_24const_host_device_scalarIT1_EET3_PKS5_PKT2_SA_S7_PKT4_S5_PKT5_S4_PT6_21rocsparse_index_base_b.has_dyn_sized_stack, 0
	.set _ZN9rocsparseL22bsrxmvn_general_kernelILj256ELj16EfliaafEEv20rocsparse_direction_NS_24const_host_device_scalarIT1_EET3_PKS5_PKT2_SA_S7_PKT4_S5_PKT5_S4_PT6_21rocsparse_index_base_b.has_recursion, 0
	.set _ZN9rocsparseL22bsrxmvn_general_kernelILj256ELj16EfliaafEEv20rocsparse_direction_NS_24const_host_device_scalarIT1_EET3_PKS5_PKT2_SA_S7_PKT4_S5_PKT5_S4_PT6_21rocsparse_index_base_b.has_indirect_call, 0
	.section	.AMDGPU.csdata,"",@progbits
; Kernel info:
; codeLenInByte = 1124
; TotalNumSgprs: 38
; NumVgprs: 22
; ScratchSize: 0
; MemoryBound: 0
; FloatMode: 240
; IeeeMode: 1
; LDSByteSize: 0 bytes/workgroup (compile time only)
; SGPRBlocks: 0
; VGPRBlocks: 2
; NumSGPRsForWavesPerEU: 38
; NumVGPRsForWavesPerEU: 22
; Occupancy: 16
; WaveLimiterHint : 1
; COMPUTE_PGM_RSRC2:SCRATCH_EN: 0
; COMPUTE_PGM_RSRC2:USER_SGPR: 6
; COMPUTE_PGM_RSRC2:TRAP_HANDLER: 0
; COMPUTE_PGM_RSRC2:TGID_X_EN: 1
; COMPUTE_PGM_RSRC2:TGID_Y_EN: 0
; COMPUTE_PGM_RSRC2:TGID_Z_EN: 0
; COMPUTE_PGM_RSRC2:TIDIG_COMP_CNT: 0
	.section	.text._ZN9rocsparseL22bsrxmvn_general_kernelILj1024ELj32EfliaafEEv20rocsparse_direction_NS_24const_host_device_scalarIT1_EET3_PKS5_PKT2_SA_S7_PKT4_S5_PKT5_S4_PT6_21rocsparse_index_base_b,"axG",@progbits,_ZN9rocsparseL22bsrxmvn_general_kernelILj1024ELj32EfliaafEEv20rocsparse_direction_NS_24const_host_device_scalarIT1_EET3_PKS5_PKT2_SA_S7_PKT4_S5_PKT5_S4_PT6_21rocsparse_index_base_b,comdat
	.globl	_ZN9rocsparseL22bsrxmvn_general_kernelILj1024ELj32EfliaafEEv20rocsparse_direction_NS_24const_host_device_scalarIT1_EET3_PKS5_PKT2_SA_S7_PKT4_S5_PKT5_S4_PT6_21rocsparse_index_base_b ; -- Begin function _ZN9rocsparseL22bsrxmvn_general_kernelILj1024ELj32EfliaafEEv20rocsparse_direction_NS_24const_host_device_scalarIT1_EET3_PKS5_PKT2_SA_S7_PKT4_S5_PKT5_S4_PT6_21rocsparse_index_base_b
	.p2align	8
	.type	_ZN9rocsparseL22bsrxmvn_general_kernelILj1024ELj32EfliaafEEv20rocsparse_direction_NS_24const_host_device_scalarIT1_EET3_PKS5_PKT2_SA_S7_PKT4_S5_PKT5_S4_PT6_21rocsparse_index_base_b,@function
_ZN9rocsparseL22bsrxmvn_general_kernelILj1024ELj32EfliaafEEv20rocsparse_direction_NS_24const_host_device_scalarIT1_EET3_PKS5_PKT2_SA_S7_PKT4_S5_PKT5_S4_PT6_21rocsparse_index_base_b: ; @_ZN9rocsparseL22bsrxmvn_general_kernelILj1024ELj32EfliaafEEv20rocsparse_direction_NS_24const_host_device_scalarIT1_EET3_PKS5_PKT2_SA_S7_PKT4_S5_PKT5_S4_PT6_21rocsparse_index_base_b
; %bb.0:
	s_clause 0x2
	s_load_dwordx2 s[2:3], s[4:5], 0x60
	s_load_dwordx2 s[16:17], s[4:5], 0x8
	s_load_dwordx2 s[18:19], s[4:5], 0x50
	s_waitcnt lgkmcnt(0)
	s_bitcmp1_b32 s3, 0
	s_cselect_b32 s0, -1, 0
	s_and_b32 vcc_lo, exec_lo, s0
	s_xor_b32 s0, s0, -1
	s_cbranch_vccnz .LBB50_2
; %bb.1:
	s_load_dword s16, s[16:17], 0x0
.LBB50_2:
	s_andn2_b32 vcc_lo, exec_lo, s0
	s_cbranch_vccnz .LBB50_4
; %bb.3:
	s_load_dword s18, s[18:19], 0x0
.LBB50_4:
	s_waitcnt lgkmcnt(0)
	v_cmp_neq_f32_e64 s0, s16, 0
	v_cmp_neq_f32_e64 s1, s18, 1.0
	s_or_b32 s0, s0, s1
	s_andn2_b32 vcc_lo, exec_lo, s0
	s_cbranch_vccnz .LBB50_26
; %bb.5:
	s_load_dwordx2 s[0:1], s[4:5], 0x18
	s_waitcnt lgkmcnt(0)
	s_cmp_eq_u64 s[0:1], 0
	s_cbranch_scc1 .LBB50_7
; %bb.6:
	s_ashr_i32 s7, s6, 31
	s_lshl_b64 s[6:7], s[6:7], 2
	s_add_u32 s0, s0, s6
	s_addc_u32 s1, s1, s7
	s_load_dword s0, s[0:1], 0x0
	s_waitcnt lgkmcnt(0)
	s_sub_i32 s6, s0, s2
.LBB50_7:
	s_load_dword s3, s[4:5], 0x40
	v_lshrrev_b32_e32 v1, 5, v0
	s_mov_b32 s0, exec_lo
	s_waitcnt lgkmcnt(0)
	v_cmpx_gt_i32_e64 s3, v1
	s_cbranch_execz .LBB50_26
; %bb.8:
	s_load_dwordx8 s[8:15], s[4:5], 0x20
	s_ashr_i32 s7, s6, 31
	v_mbcnt_lo_u32_b32 v5, -1, 0
	s_lshl_b64 s[28:29], s[6:7], 3
	s_load_dword s27, s[4:5], 0x0
	s_mul_i32 s26, s6, s3
	v_and_b32_e32 v3, 31, v0
	v_xor_b32_e32 v6, 16, v5
	v_xor_b32_e32 v7, 8, v5
	;; [unrolled: 1-line block ×5, first 2 shown]
	v_cmp_gt_i32_e32 vcc_lo, 32, v6
	v_mov_b32_e32 v2, 0
	s_mul_hi_u32 s19, s3, s3
	s_mul_i32 s24, s3, s3
	v_mul_lo_u32 v0, s3, v1
	v_cndmask_b32_e32 v6, v5, v6, vcc_lo
	v_cmp_gt_i32_e32 vcc_lo, 32, v7
	v_mul_lo_u32 v11, s3, v3
	s_waitcnt lgkmcnt(0)
	s_add_u32 s30, s8, s28
	s_addc_u32 s31, s9, s29
	v_cmp_eq_f32_e64 s25, s18, 0
	s_load_dwordx2 s[22:23], s[30:31], 0x0
	s_clause 0x1
	s_load_dwordx2 s[8:9], s[4:5], 0x58
	s_load_dwordx2 s[20:21], s[4:5], 0x48
	v_cndmask_b32_e32 v7, v5, v7, vcc_lo
	v_cmp_gt_i32_e32 vcc_lo, 32, v8
	v_cmp_gt_u32_e64 s0, s3, v3
	v_cmp_eq_u32_e64 s1, 31, v3
	v_mov_b32_e32 v4, v2
	v_lshlrev_b32_e32 v12, 2, v6
	v_cndmask_b32_e32 v8, v5, v8, vcc_lo
	v_cmp_gt_i32_e32 vcc_lo, 32, v9
	v_lshlrev_b32_e32 v13, 2, v7
	s_mov_b32 s17, 0
	v_lshlrev_b32_e32 v14, 2, v8
	v_cndmask_b32_e32 v9, v5, v9, vcc_lo
	v_cmp_gt_i32_e32 vcc_lo, 32, v10
	v_lshlrev_b32_e32 v15, 2, v9
	s_waitcnt lgkmcnt(0)
	s_sub_u32 s4, s22, s2
	s_subb_u32 s5, s23, 0
	s_add_u32 s6, s30, 8
	s_addc_u32 s7, s31, 0
	s_add_u32 s28, s10, s28
	s_addc_u32 s29, s11, s29
	s_cmp_eq_u64 s[10:11], 0
	v_cndmask_b32_e32 v5, v5, v10, vcc_lo
	s_cselect_b32 s7, s7, s29
	s_cselect_b32 s6, s6, s28
	s_mul_i32 s28, s4, s19
	s_load_dwordx2 s[10:11], s[6:7], 0x0
	s_mul_hi_u32 s29, s4, s24
	v_lshlrev_b32_e32 v16, 2, v5
	s_mul_i32 s30, s5, s24
	s_waitcnt lgkmcnt(0)
	s_sub_u32 s6, s10, s2
	s_subb_u32 s7, s11, 0
	s_cmp_lg_u32 s27, 0
	v_cmp_lt_i64_e64 s22, s[22:23], s[10:11]
	s_cselect_b32 s23, -1, 0
	s_add_i32 s10, s29, s28
	s_mul_i32 s27, s4, s24
	s_add_i32 s28, s10, s30
	s_lshl_b32 s29, s3, 5
	s_branch .LBB50_10
.LBB50_9:                               ;   in Loop: Header=BB50_10 Depth=1
	s_or_b32 exec_lo, exec_lo, s10
	v_add_nc_u32_e32 v1, 32, v1
	v_add_nc_u32_e32 v0, s29, v0
	v_cmp_le_i32_e32 vcc_lo, s3, v1
	s_or_b32 s17, vcc_lo, s17
	s_andn2_b32 exec_lo, exec_lo, s17
	s_cbranch_execz .LBB50_26
.LBB50_10:                              ; =>This Loop Header: Depth=1
                                        ;     Child Loop BB50_14 Depth 2
                                        ;       Child Loop BB50_17 Depth 3
	v_mov_b32_e32 v17, 0
	s_andn2_b32 vcc_lo, exec_lo, s22
	s_cbranch_vccnz .LBB50_21
; %bb.11:                               ;   in Loop: Header=BB50_10 Depth=1
	v_ashrrev_i32_e32 v5, 31, v0
	v_add_co_u32 v18, vcc_lo, s27, v0
	v_mov_b32_e32 v17, 0
	s_mov_b64 s[10:11], s[4:5]
	v_add_co_ci_u32_e64 v19, null, s28, v5, vcc_lo
	s_branch .LBB50_14
.LBB50_12:                              ;   in Loop: Header=BB50_14 Depth=2
	s_inst_prefetch 0x2
	s_or_b32 exec_lo, exec_lo, s31
.LBB50_13:                              ;   in Loop: Header=BB50_14 Depth=2
	s_or_b32 exec_lo, exec_lo, s30
	s_add_u32 s10, s10, 1
	s_addc_u32 s11, s11, 0
	v_add_co_u32 v18, vcc_lo, v18, s24
	v_cmp_ge_i64_e64 s30, s[10:11], s[6:7]
	v_add_co_ci_u32_e64 v19, null, s19, v19, vcc_lo
	s_and_b32 vcc_lo, exec_lo, s30
	s_cbranch_vccnz .LBB50_21
.LBB50_14:                              ;   Parent Loop BB50_10 Depth=1
                                        ; =>  This Loop Header: Depth=2
                                        ;       Child Loop BB50_17 Depth 3
	s_and_saveexec_b32 s30, s0
	s_cbranch_execz .LBB50_13
; %bb.15:                               ;   in Loop: Header=BB50_14 Depth=2
	s_lshl_b64 s[34:35], s[10:11], 2
	s_waitcnt lgkmcnt(0)
	v_mad_u64_u32 v[5:6], null, s24, s10, v[1:2]
	s_add_u32 s34, s12, s34
	s_addc_u32 s35, s13, s35
	s_mul_i32 s33, s19, s10
	s_load_dword s31, s[34:35], 0x0
	s_mul_i32 s34, s24, s11
	v_mov_b32_e32 v8, v4
	v_mov_b32_e32 v20, v11
	;; [unrolled: 1-line block ×3, first 2 shown]
	v_add3_u32 v6, s34, s33, v6
	s_waitcnt lgkmcnt(0)
	s_sub_i32 s31, s31, s2
	s_mul_i32 s33, s31, s3
	s_mov_b32 s31, 0
	s_inst_prefetch 0x1
	s_branch .LBB50_17
	.p2align	6
.LBB50_16:                              ;   in Loop: Header=BB50_17 Depth=3
	v_add_nc_u32_e32 v21, s33, v7
	v_add_co_u32 v9, vcc_lo, s14, v9
	v_add_co_ci_u32_e64 v10, null, s15, v10, vcc_lo
	v_ashrrev_i32_e32 v22, 31, v21
	v_add_co_u32 v21, vcc_lo, s20, v21
	v_add_nc_u32_e32 v20, s29, v20
	v_add_co_ci_u32_e64 v22, null, s21, v22, vcc_lo
	v_add_co_u32 v7, vcc_lo, v7, 32
	global_load_sbyte v9, v[9:10], off
	global_load_sbyte v10, v[21:22], off
	v_add_co_ci_u32_e64 v8, null, 0, v8, vcc_lo
	v_cmp_le_i32_e32 vcc_lo, s3, v7
	s_or_b32 s31, vcc_lo, s31
	s_waitcnt vmcnt(1)
	v_cvt_f32_i32_e32 v9, v9
	s_waitcnt vmcnt(0)
	v_cvt_f32_i32_e32 v10, v10
	v_fmac_f32_e32 v17, v9, v10
	s_andn2_b32 exec_lo, exec_lo, s31
	s_cbranch_execz .LBB50_12
.LBB50_17:                              ;   Parent Loop BB50_10 Depth=1
                                        ;     Parent Loop BB50_14 Depth=2
                                        ; =>    This Inner Loop Header: Depth=3
	s_and_b32 vcc_lo, exec_lo, s23
	s_cbranch_vccz .LBB50_19
; %bb.18:                               ;   in Loop: Header=BB50_17 Depth=3
	v_ashrrev_i32_e32 v10, 31, v20
	v_add_co_u32 v9, vcc_lo, v5, v20
	v_add_co_ci_u32_e64 v10, null, v6, v10, vcc_lo
	s_cbranch_execnz .LBB50_16
	s_branch .LBB50_20
.LBB50_19:                              ;   in Loop: Header=BB50_17 Depth=3
                                        ; implicit-def: $vgpr9_vgpr10
.LBB50_20:                              ;   in Loop: Header=BB50_17 Depth=3
	v_add_co_u32 v9, vcc_lo, v18, v7
	v_add_co_ci_u32_e64 v10, null, v19, v8, vcc_lo
	s_branch .LBB50_16
.LBB50_21:                              ;   in Loop: Header=BB50_10 Depth=1
	ds_bpermute_b32 v5, v12, v17
	s_waitcnt lgkmcnt(0)
	v_add_f32_e32 v5, v17, v5
	ds_bpermute_b32 v6, v13, v5
	s_waitcnt lgkmcnt(0)
	v_add_f32_e32 v5, v5, v6
	ds_bpermute_b32 v6, v14, v5
	s_waitcnt lgkmcnt(0)
	v_add_f32_e32 v5, v5, v6
	ds_bpermute_b32 v6, v15, v5
	s_waitcnt lgkmcnt(0)
	v_add_f32_e32 v5, v5, v6
	ds_bpermute_b32 v6, v16, v5
	s_and_saveexec_b32 s10, s1
	s_cbranch_execz .LBB50_9
; %bb.22:                               ;   in Loop: Header=BB50_10 Depth=1
	s_waitcnt lgkmcnt(0)
	v_add_f32_e32 v6, v5, v6
	v_add_nc_u32_e32 v5, s26, v1
	s_and_b32 vcc_lo, exec_lo, s25
	v_mul_f32_e32 v7, s16, v6
	v_ashrrev_i32_e32 v6, 31, v5
	s_cbranch_vccz .LBB50_24
; %bb.23:                               ;   in Loop: Header=BB50_10 Depth=1
	v_lshlrev_b64 v[8:9], 2, v[5:6]
	v_add_co_u32 v8, vcc_lo, s8, v8
	v_add_co_ci_u32_e64 v9, null, s9, v9, vcc_lo
	global_store_dword v[8:9], v7, off
	s_cbranch_execnz .LBB50_9
	s_branch .LBB50_25
.LBB50_24:                              ;   in Loop: Header=BB50_10 Depth=1
.LBB50_25:                              ;   in Loop: Header=BB50_10 Depth=1
	v_lshlrev_b64 v[5:6], 2, v[5:6]
	v_add_co_u32 v5, vcc_lo, s8, v5
	v_add_co_ci_u32_e64 v6, null, s9, v6, vcc_lo
	global_load_dword v8, v[5:6], off
	s_waitcnt vmcnt(0)
	v_fmac_f32_e32 v7, s18, v8
	global_store_dword v[5:6], v7, off
	s_branch .LBB50_9
.LBB50_26:
	s_endpgm
	.section	.rodata,"a",@progbits
	.p2align	6, 0x0
	.amdhsa_kernel _ZN9rocsparseL22bsrxmvn_general_kernelILj1024ELj32EfliaafEEv20rocsparse_direction_NS_24const_host_device_scalarIT1_EET3_PKS5_PKT2_SA_S7_PKT4_S5_PKT5_S4_PT6_21rocsparse_index_base_b
		.amdhsa_group_segment_fixed_size 0
		.amdhsa_private_segment_fixed_size 0
		.amdhsa_kernarg_size 104
		.amdhsa_user_sgpr_count 6
		.amdhsa_user_sgpr_private_segment_buffer 1
		.amdhsa_user_sgpr_dispatch_ptr 0
		.amdhsa_user_sgpr_queue_ptr 0
		.amdhsa_user_sgpr_kernarg_segment_ptr 1
		.amdhsa_user_sgpr_dispatch_id 0
		.amdhsa_user_sgpr_flat_scratch_init 0
		.amdhsa_user_sgpr_private_segment_size 0
		.amdhsa_wavefront_size32 1
		.amdhsa_uses_dynamic_stack 0
		.amdhsa_system_sgpr_private_segment_wavefront_offset 0
		.amdhsa_system_sgpr_workgroup_id_x 1
		.amdhsa_system_sgpr_workgroup_id_y 0
		.amdhsa_system_sgpr_workgroup_id_z 0
		.amdhsa_system_sgpr_workgroup_info 0
		.amdhsa_system_vgpr_workitem_id 0
		.amdhsa_next_free_vgpr 23
		.amdhsa_next_free_sgpr 36
		.amdhsa_reserve_vcc 1
		.amdhsa_reserve_flat_scratch 0
		.amdhsa_float_round_mode_32 0
		.amdhsa_float_round_mode_16_64 0
		.amdhsa_float_denorm_mode_32 3
		.amdhsa_float_denorm_mode_16_64 3
		.amdhsa_dx10_clamp 1
		.amdhsa_ieee_mode 1
		.amdhsa_fp16_overflow 0
		.amdhsa_workgroup_processor_mode 1
		.amdhsa_memory_ordered 1
		.amdhsa_forward_progress 1
		.amdhsa_shared_vgpr_count 0
		.amdhsa_exception_fp_ieee_invalid_op 0
		.amdhsa_exception_fp_denorm_src 0
		.amdhsa_exception_fp_ieee_div_zero 0
		.amdhsa_exception_fp_ieee_overflow 0
		.amdhsa_exception_fp_ieee_underflow 0
		.amdhsa_exception_fp_ieee_inexact 0
		.amdhsa_exception_int_div_zero 0
	.end_amdhsa_kernel
	.section	.text._ZN9rocsparseL22bsrxmvn_general_kernelILj1024ELj32EfliaafEEv20rocsparse_direction_NS_24const_host_device_scalarIT1_EET3_PKS5_PKT2_SA_S7_PKT4_S5_PKT5_S4_PT6_21rocsparse_index_base_b,"axG",@progbits,_ZN9rocsparseL22bsrxmvn_general_kernelILj1024ELj32EfliaafEEv20rocsparse_direction_NS_24const_host_device_scalarIT1_EET3_PKS5_PKT2_SA_S7_PKT4_S5_PKT5_S4_PT6_21rocsparse_index_base_b,comdat
.Lfunc_end50:
	.size	_ZN9rocsparseL22bsrxmvn_general_kernelILj1024ELj32EfliaafEEv20rocsparse_direction_NS_24const_host_device_scalarIT1_EET3_PKS5_PKT2_SA_S7_PKT4_S5_PKT5_S4_PT6_21rocsparse_index_base_b, .Lfunc_end50-_ZN9rocsparseL22bsrxmvn_general_kernelILj1024ELj32EfliaafEEv20rocsparse_direction_NS_24const_host_device_scalarIT1_EET3_PKS5_PKT2_SA_S7_PKT4_S5_PKT5_S4_PT6_21rocsparse_index_base_b
                                        ; -- End function
	.set _ZN9rocsparseL22bsrxmvn_general_kernelILj1024ELj32EfliaafEEv20rocsparse_direction_NS_24const_host_device_scalarIT1_EET3_PKS5_PKT2_SA_S7_PKT4_S5_PKT5_S4_PT6_21rocsparse_index_base_b.num_vgpr, 23
	.set _ZN9rocsparseL22bsrxmvn_general_kernelILj1024ELj32EfliaafEEv20rocsparse_direction_NS_24const_host_device_scalarIT1_EET3_PKS5_PKT2_SA_S7_PKT4_S5_PKT5_S4_PT6_21rocsparse_index_base_b.num_agpr, 0
	.set _ZN9rocsparseL22bsrxmvn_general_kernelILj1024ELj32EfliaafEEv20rocsparse_direction_NS_24const_host_device_scalarIT1_EET3_PKS5_PKT2_SA_S7_PKT4_S5_PKT5_S4_PT6_21rocsparse_index_base_b.numbered_sgpr, 36
	.set _ZN9rocsparseL22bsrxmvn_general_kernelILj1024ELj32EfliaafEEv20rocsparse_direction_NS_24const_host_device_scalarIT1_EET3_PKS5_PKT2_SA_S7_PKT4_S5_PKT5_S4_PT6_21rocsparse_index_base_b.num_named_barrier, 0
	.set _ZN9rocsparseL22bsrxmvn_general_kernelILj1024ELj32EfliaafEEv20rocsparse_direction_NS_24const_host_device_scalarIT1_EET3_PKS5_PKT2_SA_S7_PKT4_S5_PKT5_S4_PT6_21rocsparse_index_base_b.private_seg_size, 0
	.set _ZN9rocsparseL22bsrxmvn_general_kernelILj1024ELj32EfliaafEEv20rocsparse_direction_NS_24const_host_device_scalarIT1_EET3_PKS5_PKT2_SA_S7_PKT4_S5_PKT5_S4_PT6_21rocsparse_index_base_b.uses_vcc, 1
	.set _ZN9rocsparseL22bsrxmvn_general_kernelILj1024ELj32EfliaafEEv20rocsparse_direction_NS_24const_host_device_scalarIT1_EET3_PKS5_PKT2_SA_S7_PKT4_S5_PKT5_S4_PT6_21rocsparse_index_base_b.uses_flat_scratch, 0
	.set _ZN9rocsparseL22bsrxmvn_general_kernelILj1024ELj32EfliaafEEv20rocsparse_direction_NS_24const_host_device_scalarIT1_EET3_PKS5_PKT2_SA_S7_PKT4_S5_PKT5_S4_PT6_21rocsparse_index_base_b.has_dyn_sized_stack, 0
	.set _ZN9rocsparseL22bsrxmvn_general_kernelILj1024ELj32EfliaafEEv20rocsparse_direction_NS_24const_host_device_scalarIT1_EET3_PKS5_PKT2_SA_S7_PKT4_S5_PKT5_S4_PT6_21rocsparse_index_base_b.has_recursion, 0
	.set _ZN9rocsparseL22bsrxmvn_general_kernelILj1024ELj32EfliaafEEv20rocsparse_direction_NS_24const_host_device_scalarIT1_EET3_PKS5_PKT2_SA_S7_PKT4_S5_PKT5_S4_PT6_21rocsparse_index_base_b.has_indirect_call, 0
	.section	.AMDGPU.csdata,"",@progbits
; Kernel info:
; codeLenInByte = 1140
; TotalNumSgprs: 38
; NumVgprs: 23
; ScratchSize: 0
; MemoryBound: 0
; FloatMode: 240
; IeeeMode: 1
; LDSByteSize: 0 bytes/workgroup (compile time only)
; SGPRBlocks: 0
; VGPRBlocks: 2
; NumSGPRsForWavesPerEU: 38
; NumVGPRsForWavesPerEU: 23
; Occupancy: 16
; WaveLimiterHint : 1
; COMPUTE_PGM_RSRC2:SCRATCH_EN: 0
; COMPUTE_PGM_RSRC2:USER_SGPR: 6
; COMPUTE_PGM_RSRC2:TRAP_HANDLER: 0
; COMPUTE_PGM_RSRC2:TGID_X_EN: 1
; COMPUTE_PGM_RSRC2:TGID_Y_EN: 0
; COMPUTE_PGM_RSRC2:TGID_Z_EN: 0
; COMPUTE_PGM_RSRC2:TIDIG_COMP_CNT: 0
	.section	.text._ZN9rocsparseL22bsrxmvn_general_kernelILj64ELj8EfllaafEEv20rocsparse_direction_NS_24const_host_device_scalarIT1_EET3_PKS5_PKT2_SA_S7_PKT4_S5_PKT5_S4_PT6_21rocsparse_index_base_b,"axG",@progbits,_ZN9rocsparseL22bsrxmvn_general_kernelILj64ELj8EfllaafEEv20rocsparse_direction_NS_24const_host_device_scalarIT1_EET3_PKS5_PKT2_SA_S7_PKT4_S5_PKT5_S4_PT6_21rocsparse_index_base_b,comdat
	.globl	_ZN9rocsparseL22bsrxmvn_general_kernelILj64ELj8EfllaafEEv20rocsparse_direction_NS_24const_host_device_scalarIT1_EET3_PKS5_PKT2_SA_S7_PKT4_S5_PKT5_S4_PT6_21rocsparse_index_base_b ; -- Begin function _ZN9rocsparseL22bsrxmvn_general_kernelILj64ELj8EfllaafEEv20rocsparse_direction_NS_24const_host_device_scalarIT1_EET3_PKS5_PKT2_SA_S7_PKT4_S5_PKT5_S4_PT6_21rocsparse_index_base_b
	.p2align	8
	.type	_ZN9rocsparseL22bsrxmvn_general_kernelILj64ELj8EfllaafEEv20rocsparse_direction_NS_24const_host_device_scalarIT1_EET3_PKS5_PKT2_SA_S7_PKT4_S5_PKT5_S4_PT6_21rocsparse_index_base_b,@function
_ZN9rocsparseL22bsrxmvn_general_kernelILj64ELj8EfllaafEEv20rocsparse_direction_NS_24const_host_device_scalarIT1_EET3_PKS5_PKT2_SA_S7_PKT4_S5_PKT5_S4_PT6_21rocsparse_index_base_b: ; @_ZN9rocsparseL22bsrxmvn_general_kernelILj64ELj8EfllaafEEv20rocsparse_direction_NS_24const_host_device_scalarIT1_EET3_PKS5_PKT2_SA_S7_PKT4_S5_PKT5_S4_PT6_21rocsparse_index_base_b
; %bb.0:
	s_clause 0x2
	s_load_dwordx2 s[16:17], s[4:5], 0x60
	s_load_dwordx2 s[18:19], s[4:5], 0x8
	;; [unrolled: 1-line block ×3, first 2 shown]
	s_waitcnt lgkmcnt(0)
	s_bitcmp1_b32 s17, 0
	s_cselect_b32 s0, -1, 0
	s_and_b32 vcc_lo, exec_lo, s0
	s_xor_b32 s0, s0, -1
	s_cbranch_vccnz .LBB51_2
; %bb.1:
	s_load_dword s18, s[18:19], 0x0
.LBB51_2:
	s_andn2_b32 vcc_lo, exec_lo, s0
	s_cbranch_vccnz .LBB51_4
; %bb.3:
	s_load_dword s20, s[20:21], 0x0
.LBB51_4:
	s_waitcnt lgkmcnt(0)
	v_cmp_neq_f32_e64 s0, s18, 0
	v_cmp_neq_f32_e64 s1, s20, 1.0
	s_mov_b32 s7, 0
	s_or_b32 s0, s0, s1
	s_andn2_b32 vcc_lo, exec_lo, s0
	s_cbranch_vccnz .LBB51_26
; %bb.5:
	s_load_dwordx2 s[0:1], s[4:5], 0x18
	s_waitcnt lgkmcnt(0)
	s_cmp_eq_u64 s[0:1], 0
	s_cbranch_scc1 .LBB51_7
; %bb.6:
	s_lshl_b64 s[2:3], s[6:7], 3
	s_add_u32 s0, s0, s2
	s_addc_u32 s1, s1, s3
	s_load_dwordx2 s[0:1], s[0:1], 0x0
	s_waitcnt lgkmcnt(0)
	s_sub_u32 s6, s0, s16
	s_subb_u32 s7, s1, 0
.LBB51_7:
	s_load_dwordx2 s[22:23], s[4:5], 0x40
	v_lshrrev_b32_e32 v1, 3, v0
	v_mov_b32_e32 v2, 0
	s_mov_b32 s0, exec_lo
	s_waitcnt lgkmcnt(0)
	v_cmpx_gt_i64_e64 s[22:23], v[1:2]
	s_cbranch_execz .LBB51_26
; %bb.8:
	s_load_dwordx8 s[8:15], s[4:5], 0x20
	s_lshl_b64 s[0:1], s[6:7], 3
	s_load_dword s21, s[4:5], 0x0
	s_mul_i32 s29, s6, s23
	s_mul_hi_u32 s30, s6, s22
	s_mul_i32 s28, s6, s22
	s_mul_i32 s31, s7, s22
	v_and_b32_e32 v3, 7, v0
	v_mbcnt_lo_u32_b32 v0, -1, 0
	v_mov_b32_e32 v4, v2
	s_mul_i32 s33, s22, s23
	s_mul_hi_u32 s34, s22, s22
	v_cmp_eq_f32_e64 s19, s20, 0
	v_xor_b32_e32 v7, 4, v0
	v_xor_b32_e32 v8, 2, v0
	;; [unrolled: 1-line block ×3, first 2 shown]
	s_mov_b32 s17, 0
	v_cmp_gt_i32_e32 vcc_lo, 32, v7
	s_waitcnt lgkmcnt(0)
	s_add_u32 s26, s8, s0
	s_addc_u32 s27, s9, s1
	s_load_dwordx2 s[24:25], s[26:27], 0x0
	s_clause 0x1
	s_load_dwordx2 s[2:3], s[4:5], 0x58
	s_load_dwordx2 s[8:9], s[4:5], 0x48
	v_cndmask_b32_e32 v7, v0, v7, vcc_lo
	v_cmp_gt_i32_e32 vcc_lo, 32, v8
	v_cndmask_b32_e32 v8, v0, v8, vcc_lo
	v_cmp_gt_i32_e32 vcc_lo, 32, v9
	v_lshlrev_b32_e32 v13, 2, v8
	v_cndmask_b32_e32 v9, v0, v9, vcc_lo
	v_lshlrev_b32_e32 v0, 2, v7
	v_lshlrev_b32_e32 v14, 2, v9
	s_waitcnt lgkmcnt(0)
	s_sub_u32 s4, s24, s16
	s_subb_u32 s5, s25, 0
	s_add_u32 s6, s26, 8
	s_addc_u32 s7, s27, 0
	s_add_u32 s26, s10, s0
	s_addc_u32 s1, s11, s1
	s_cmp_eq_u64 s[10:11], 0
	v_mad_u64_u32 v[5:6], null, s22, s4, v[1:2]
	s_cselect_b32 s7, s7, s1
	s_cselect_b32 s6, s6, s26
	v_cmp_gt_u64_e64 s0, s[22:23], v[3:4]
	s_load_dwordx2 s[10:11], s[6:7], 0x0
	s_mul_i32 s6, s23, s4
	s_mul_i32 s7, s22, s5
	v_mul_lo_u32 v7, s23, v5
	v_add3_u32 v10, s7, s6, v6
	v_mad_u64_u32 v[5:6], null, s22, v5, 0
	v_cmp_eq_u32_e64 s1, 7, v3
	v_mul_lo_u32 v10, s22, v10
	v_add3_u32 v6, v6, v10, v7
	s_waitcnt lgkmcnt(0)
	s_sub_u32 s6, s10, s16
	s_subb_u32 s7, s11, 0
	s_cmp_lg_u32 s21, 0
	v_cmp_lt_i64_e64 s24, s[24:25], s[10:11]
	s_cselect_b32 s21, -1, 0
	s_add_i32 s26, s30, s29
	s_add_i32 s29, s26, s31
	s_lshl_b64 s[26:27], s[28:29], 2
	s_mul_i32 s28, s22, s22
	s_add_u32 s25, s2, s26
	s_addc_u32 s26, s3, s27
	s_add_i32 s2, s34, s33
	s_lshl_b64 s[10:11], s[22:23], 3
	s_add_i32 s27, s2, s33
	s_branch .LBB51_10
.LBB51_9:                               ;   in Loop: Header=BB51_10 Depth=1
	s_or_b32 exec_lo, exec_lo, s2
	v_add_co_u32 v1, vcc_lo, v1, 8
	v_add_co_ci_u32_e64 v2, null, 0, v2, vcc_lo
	v_add_co_u32 v5, s2, v5, s10
	v_add_co_ci_u32_e64 v6, null, s11, v6, s2
	v_cmp_le_i64_e32 vcc_lo, s[22:23], v[1:2]
	s_or_b32 s17, vcc_lo, s17
	s_andn2_b32 exec_lo, exec_lo, s17
	s_cbranch_execz .LBB51_26
.LBB51_10:                              ; =>This Loop Header: Depth=1
                                        ;     Child Loop BB51_14 Depth 2
                                        ;       Child Loop BB51_17 Depth 3
	v_mov_b32_e32 v15, 0
	s_andn2_b32 vcc_lo, exec_lo, s24
	s_cbranch_vccnz .LBB51_21
; %bb.11:                               ;   in Loop: Header=BB51_10 Depth=1
	s_waitcnt lgkmcnt(0)
	v_mov_b32_e32 v8, v6
	v_mov_b32_e32 v15, 0
	;; [unrolled: 1-line block ×3, first 2 shown]
	s_mov_b64 s[2:3], s[4:5]
	s_branch .LBB51_14
.LBB51_12:                              ;   in Loop: Header=BB51_14 Depth=2
	s_or_b32 exec_lo, exec_lo, s34
.LBB51_13:                              ;   in Loop: Header=BB51_14 Depth=2
	s_or_b32 exec_lo, exec_lo, s29
	s_add_u32 s2, s2, 1
	s_addc_u32 s3, s3, 0
	v_add_co_u32 v7, vcc_lo, v7, s28
	v_cmp_ge_i64_e64 s29, s[2:3], s[6:7]
	v_add_co_ci_u32_e64 v8, null, s27, v8, vcc_lo
	s_and_b32 vcc_lo, exec_lo, s29
	s_cbranch_vccnz .LBB51_21
.LBB51_14:                              ;   Parent Loop BB51_10 Depth=1
                                        ; =>  This Loop Header: Depth=2
                                        ;       Child Loop BB51_17 Depth 3
	s_and_saveexec_b32 s29, s0
	s_cbranch_execz .LBB51_13
; %bb.15:                               ;   in Loop: Header=BB51_14 Depth=2
	s_lshl_b64 s[30:31], s[2:3], 3
	s_mul_hi_u32 s33, s2, s22
	s_add_u32 s30, s12, s30
	s_addc_u32 s31, s13, s31
	s_mul_i32 s36, s3, s22
	s_load_dwordx2 s[34:35], s[30:31], 0x0
	s_mul_i32 s31, s2, s23
	v_mov_b32_e32 v10, v4
	v_mov_b32_e32 v9, v3
	s_mul_i32 s30, s2, s22
	s_waitcnt lgkmcnt(0)
	s_sub_u32 s34, s34, s16
	s_subb_u32 s35, s35, 0
	s_add_i32 s31, s33, s31
	s_mul_i32 s33, s34, s23
	s_mul_hi_u32 s37, s34, s22
	s_mul_i32 s35, s35, s22
	s_add_i32 s33, s37, s33
	s_mul_i32 s34, s34, s22
	s_add_i32 s31, s31, s36
	s_add_i32 s35, s33, s35
	s_add_u32 s33, s8, s34
	s_addc_u32 s35, s9, s35
	s_mov_b32 s34, 0
	s_branch .LBB51_17
.LBB51_16:                              ;   in Loop: Header=BB51_17 Depth=3
	v_add_co_u32 v11, vcc_lo, s14, v11
	v_add_co_ci_u32_e64 v12, null, s15, v12, vcc_lo
	v_add_co_u32 v16, vcc_lo, s33, v9
	v_add_co_ci_u32_e64 v17, null, s35, v10, vcc_lo
	global_load_sbyte v11, v[11:12], off
	global_load_sbyte v12, v[16:17], off
	v_add_co_u32 v9, vcc_lo, v9, 8
	v_add_co_ci_u32_e64 v10, null, 0, v10, vcc_lo
	v_cmp_le_i64_e32 vcc_lo, s[22:23], v[9:10]
	s_or_b32 s34, vcc_lo, s34
	s_waitcnt vmcnt(1)
	v_cvt_f32_i32_e32 v11, v11
	s_waitcnt vmcnt(0)
	v_cvt_f32_i32_e32 v12, v12
	v_fmac_f32_e32 v15, v11, v12
	s_andn2_b32 exec_lo, exec_lo, s34
	s_cbranch_execz .LBB51_12
.LBB51_17:                              ;   Parent Loop BB51_10 Depth=1
                                        ;     Parent Loop BB51_14 Depth=2
                                        ; =>    This Inner Loop Header: Depth=3
	s_and_b32 vcc_lo, exec_lo, s21
	s_cbranch_vccz .LBB51_19
; %bb.18:                               ;   in Loop: Header=BB51_17 Depth=3
	v_add_co_u32 v11, vcc_lo, v9, s30
	v_add_co_ci_u32_e64 v12, null, s31, v10, vcc_lo
	v_mul_lo_u32 v16, v11, s23
	v_mul_lo_u32 v17, v12, s22
	v_mad_u64_u32 v[11:12], null, v11, s22, v[1:2]
	v_add3_u32 v12, v17, v12, v16
	s_cbranch_execnz .LBB51_16
	s_branch .LBB51_20
.LBB51_19:                              ;   in Loop: Header=BB51_17 Depth=3
                                        ; implicit-def: $vgpr11_vgpr12
.LBB51_20:                              ;   in Loop: Header=BB51_17 Depth=3
	v_add_co_u32 v11, vcc_lo, v7, v9
	v_add_co_ci_u32_e64 v12, null, v8, v10, vcc_lo
	s_branch .LBB51_16
.LBB51_21:                              ;   in Loop: Header=BB51_10 Depth=1
	ds_bpermute_b32 v7, v0, v15
	s_waitcnt lgkmcnt(0)
	v_add_f32_e32 v7, v15, v7
	ds_bpermute_b32 v8, v13, v7
	s_waitcnt lgkmcnt(0)
	v_add_f32_e32 v7, v7, v8
	ds_bpermute_b32 v8, v14, v7
	s_and_saveexec_b32 s2, s1
	s_cbranch_execz .LBB51_9
; %bb.22:                               ;   in Loop: Header=BB51_10 Depth=1
	s_waitcnt lgkmcnt(0)
	v_add_f32_e32 v9, v7, v8
	v_lshlrev_b64 v[7:8], 2, v[1:2]
	s_and_b32 vcc_lo, exec_lo, s19
	v_mul_f32_e32 v9, s18, v9
	s_cbranch_vccz .LBB51_24
; %bb.23:                               ;   in Loop: Header=BB51_10 Depth=1
	v_add_co_u32 v10, vcc_lo, s25, v7
	v_add_co_ci_u32_e64 v11, null, s26, v8, vcc_lo
	global_store_dword v[10:11], v9, off
	s_cbranch_execnz .LBB51_9
	s_branch .LBB51_25
.LBB51_24:                              ;   in Loop: Header=BB51_10 Depth=1
.LBB51_25:                              ;   in Loop: Header=BB51_10 Depth=1
	v_add_co_u32 v7, vcc_lo, s25, v7
	v_add_co_ci_u32_e64 v8, null, s26, v8, vcc_lo
	global_load_dword v10, v[7:8], off
	s_waitcnt vmcnt(0)
	v_fmac_f32_e32 v9, s20, v10
	global_store_dword v[7:8], v9, off
	s_branch .LBB51_9
.LBB51_26:
	s_endpgm
	.section	.rodata,"a",@progbits
	.p2align	6, 0x0
	.amdhsa_kernel _ZN9rocsparseL22bsrxmvn_general_kernelILj64ELj8EfllaafEEv20rocsparse_direction_NS_24const_host_device_scalarIT1_EET3_PKS5_PKT2_SA_S7_PKT4_S5_PKT5_S4_PT6_21rocsparse_index_base_b
		.amdhsa_group_segment_fixed_size 0
		.amdhsa_private_segment_fixed_size 0
		.amdhsa_kernarg_size 104
		.amdhsa_user_sgpr_count 6
		.amdhsa_user_sgpr_private_segment_buffer 1
		.amdhsa_user_sgpr_dispatch_ptr 0
		.amdhsa_user_sgpr_queue_ptr 0
		.amdhsa_user_sgpr_kernarg_segment_ptr 1
		.amdhsa_user_sgpr_dispatch_id 0
		.amdhsa_user_sgpr_flat_scratch_init 0
		.amdhsa_user_sgpr_private_segment_size 0
		.amdhsa_wavefront_size32 1
		.amdhsa_uses_dynamic_stack 0
		.amdhsa_system_sgpr_private_segment_wavefront_offset 0
		.amdhsa_system_sgpr_workgroup_id_x 1
		.amdhsa_system_sgpr_workgroup_id_y 0
		.amdhsa_system_sgpr_workgroup_id_z 0
		.amdhsa_system_sgpr_workgroup_info 0
		.amdhsa_system_vgpr_workitem_id 0
		.amdhsa_next_free_vgpr 18
		.amdhsa_next_free_sgpr 38
		.amdhsa_reserve_vcc 1
		.amdhsa_reserve_flat_scratch 0
		.amdhsa_float_round_mode_32 0
		.amdhsa_float_round_mode_16_64 0
		.amdhsa_float_denorm_mode_32 3
		.amdhsa_float_denorm_mode_16_64 3
		.amdhsa_dx10_clamp 1
		.amdhsa_ieee_mode 1
		.amdhsa_fp16_overflow 0
		.amdhsa_workgroup_processor_mode 1
		.amdhsa_memory_ordered 1
		.amdhsa_forward_progress 1
		.amdhsa_shared_vgpr_count 0
		.amdhsa_exception_fp_ieee_invalid_op 0
		.amdhsa_exception_fp_denorm_src 0
		.amdhsa_exception_fp_ieee_div_zero 0
		.amdhsa_exception_fp_ieee_overflow 0
		.amdhsa_exception_fp_ieee_underflow 0
		.amdhsa_exception_fp_ieee_inexact 0
		.amdhsa_exception_int_div_zero 0
	.end_amdhsa_kernel
	.section	.text._ZN9rocsparseL22bsrxmvn_general_kernelILj64ELj8EfllaafEEv20rocsparse_direction_NS_24const_host_device_scalarIT1_EET3_PKS5_PKT2_SA_S7_PKT4_S5_PKT5_S4_PT6_21rocsparse_index_base_b,"axG",@progbits,_ZN9rocsparseL22bsrxmvn_general_kernelILj64ELj8EfllaafEEv20rocsparse_direction_NS_24const_host_device_scalarIT1_EET3_PKS5_PKT2_SA_S7_PKT4_S5_PKT5_S4_PT6_21rocsparse_index_base_b,comdat
.Lfunc_end51:
	.size	_ZN9rocsparseL22bsrxmvn_general_kernelILj64ELj8EfllaafEEv20rocsparse_direction_NS_24const_host_device_scalarIT1_EET3_PKS5_PKT2_SA_S7_PKT4_S5_PKT5_S4_PT6_21rocsparse_index_base_b, .Lfunc_end51-_ZN9rocsparseL22bsrxmvn_general_kernelILj64ELj8EfllaafEEv20rocsparse_direction_NS_24const_host_device_scalarIT1_EET3_PKS5_PKT2_SA_S7_PKT4_S5_PKT5_S4_PT6_21rocsparse_index_base_b
                                        ; -- End function
	.set _ZN9rocsparseL22bsrxmvn_general_kernelILj64ELj8EfllaafEEv20rocsparse_direction_NS_24const_host_device_scalarIT1_EET3_PKS5_PKT2_SA_S7_PKT4_S5_PKT5_S4_PT6_21rocsparse_index_base_b.num_vgpr, 18
	.set _ZN9rocsparseL22bsrxmvn_general_kernelILj64ELj8EfllaafEEv20rocsparse_direction_NS_24const_host_device_scalarIT1_EET3_PKS5_PKT2_SA_S7_PKT4_S5_PKT5_S4_PT6_21rocsparse_index_base_b.num_agpr, 0
	.set _ZN9rocsparseL22bsrxmvn_general_kernelILj64ELj8EfllaafEEv20rocsparse_direction_NS_24const_host_device_scalarIT1_EET3_PKS5_PKT2_SA_S7_PKT4_S5_PKT5_S4_PT6_21rocsparse_index_base_b.numbered_sgpr, 38
	.set _ZN9rocsparseL22bsrxmvn_general_kernelILj64ELj8EfllaafEEv20rocsparse_direction_NS_24const_host_device_scalarIT1_EET3_PKS5_PKT2_SA_S7_PKT4_S5_PKT5_S4_PT6_21rocsparse_index_base_b.num_named_barrier, 0
	.set _ZN9rocsparseL22bsrxmvn_general_kernelILj64ELj8EfllaafEEv20rocsparse_direction_NS_24const_host_device_scalarIT1_EET3_PKS5_PKT2_SA_S7_PKT4_S5_PKT5_S4_PT6_21rocsparse_index_base_b.private_seg_size, 0
	.set _ZN9rocsparseL22bsrxmvn_general_kernelILj64ELj8EfllaafEEv20rocsparse_direction_NS_24const_host_device_scalarIT1_EET3_PKS5_PKT2_SA_S7_PKT4_S5_PKT5_S4_PT6_21rocsparse_index_base_b.uses_vcc, 1
	.set _ZN9rocsparseL22bsrxmvn_general_kernelILj64ELj8EfllaafEEv20rocsparse_direction_NS_24const_host_device_scalarIT1_EET3_PKS5_PKT2_SA_S7_PKT4_S5_PKT5_S4_PT6_21rocsparse_index_base_b.uses_flat_scratch, 0
	.set _ZN9rocsparseL22bsrxmvn_general_kernelILj64ELj8EfllaafEEv20rocsparse_direction_NS_24const_host_device_scalarIT1_EET3_PKS5_PKT2_SA_S7_PKT4_S5_PKT5_S4_PT6_21rocsparse_index_base_b.has_dyn_sized_stack, 0
	.set _ZN9rocsparseL22bsrxmvn_general_kernelILj64ELj8EfllaafEEv20rocsparse_direction_NS_24const_host_device_scalarIT1_EET3_PKS5_PKT2_SA_S7_PKT4_S5_PKT5_S4_PT6_21rocsparse_index_base_b.has_recursion, 0
	.set _ZN9rocsparseL22bsrxmvn_general_kernelILj64ELj8EfllaafEEv20rocsparse_direction_NS_24const_host_device_scalarIT1_EET3_PKS5_PKT2_SA_S7_PKT4_S5_PKT5_S4_PT6_21rocsparse_index_base_b.has_indirect_call, 0
	.section	.AMDGPU.csdata,"",@progbits
; Kernel info:
; codeLenInByte = 1136
; TotalNumSgprs: 40
; NumVgprs: 18
; ScratchSize: 0
; MemoryBound: 0
; FloatMode: 240
; IeeeMode: 1
; LDSByteSize: 0 bytes/workgroup (compile time only)
; SGPRBlocks: 0
; VGPRBlocks: 2
; NumSGPRsForWavesPerEU: 40
; NumVGPRsForWavesPerEU: 18
; Occupancy: 16
; WaveLimiterHint : 1
; COMPUTE_PGM_RSRC2:SCRATCH_EN: 0
; COMPUTE_PGM_RSRC2:USER_SGPR: 6
; COMPUTE_PGM_RSRC2:TRAP_HANDLER: 0
; COMPUTE_PGM_RSRC2:TGID_X_EN: 1
; COMPUTE_PGM_RSRC2:TGID_Y_EN: 0
; COMPUTE_PGM_RSRC2:TGID_Z_EN: 0
; COMPUTE_PGM_RSRC2:TIDIG_COMP_CNT: 0
	.section	.text._ZN9rocsparseL22bsrxmvn_general_kernelILj256ELj16EfllaafEEv20rocsparse_direction_NS_24const_host_device_scalarIT1_EET3_PKS5_PKT2_SA_S7_PKT4_S5_PKT5_S4_PT6_21rocsparse_index_base_b,"axG",@progbits,_ZN9rocsparseL22bsrxmvn_general_kernelILj256ELj16EfllaafEEv20rocsparse_direction_NS_24const_host_device_scalarIT1_EET3_PKS5_PKT2_SA_S7_PKT4_S5_PKT5_S4_PT6_21rocsparse_index_base_b,comdat
	.globl	_ZN9rocsparseL22bsrxmvn_general_kernelILj256ELj16EfllaafEEv20rocsparse_direction_NS_24const_host_device_scalarIT1_EET3_PKS5_PKT2_SA_S7_PKT4_S5_PKT5_S4_PT6_21rocsparse_index_base_b ; -- Begin function _ZN9rocsparseL22bsrxmvn_general_kernelILj256ELj16EfllaafEEv20rocsparse_direction_NS_24const_host_device_scalarIT1_EET3_PKS5_PKT2_SA_S7_PKT4_S5_PKT5_S4_PT6_21rocsparse_index_base_b
	.p2align	8
	.type	_ZN9rocsparseL22bsrxmvn_general_kernelILj256ELj16EfllaafEEv20rocsparse_direction_NS_24const_host_device_scalarIT1_EET3_PKS5_PKT2_SA_S7_PKT4_S5_PKT5_S4_PT6_21rocsparse_index_base_b,@function
_ZN9rocsparseL22bsrxmvn_general_kernelILj256ELj16EfllaafEEv20rocsparse_direction_NS_24const_host_device_scalarIT1_EET3_PKS5_PKT2_SA_S7_PKT4_S5_PKT5_S4_PT6_21rocsparse_index_base_b: ; @_ZN9rocsparseL22bsrxmvn_general_kernelILj256ELj16EfllaafEEv20rocsparse_direction_NS_24const_host_device_scalarIT1_EET3_PKS5_PKT2_SA_S7_PKT4_S5_PKT5_S4_PT6_21rocsparse_index_base_b
; %bb.0:
	s_clause 0x2
	s_load_dwordx2 s[16:17], s[4:5], 0x60
	s_load_dwordx2 s[18:19], s[4:5], 0x8
	s_load_dwordx2 s[20:21], s[4:5], 0x50
	s_waitcnt lgkmcnt(0)
	s_bitcmp1_b32 s17, 0
	s_cselect_b32 s0, -1, 0
	s_and_b32 vcc_lo, exec_lo, s0
	s_xor_b32 s0, s0, -1
	s_cbranch_vccnz .LBB52_2
; %bb.1:
	s_load_dword s18, s[18:19], 0x0
.LBB52_2:
	s_andn2_b32 vcc_lo, exec_lo, s0
	s_cbranch_vccnz .LBB52_4
; %bb.3:
	s_load_dword s20, s[20:21], 0x0
.LBB52_4:
	s_waitcnt lgkmcnt(0)
	v_cmp_neq_f32_e64 s0, s18, 0
	v_cmp_neq_f32_e64 s1, s20, 1.0
	s_mov_b32 s7, 0
	s_or_b32 s0, s0, s1
	s_andn2_b32 vcc_lo, exec_lo, s0
	s_cbranch_vccnz .LBB52_26
; %bb.5:
	s_load_dwordx2 s[0:1], s[4:5], 0x18
	s_waitcnt lgkmcnt(0)
	s_cmp_eq_u64 s[0:1], 0
	s_cbranch_scc1 .LBB52_7
; %bb.6:
	s_lshl_b64 s[2:3], s[6:7], 3
	s_add_u32 s0, s0, s2
	s_addc_u32 s1, s1, s3
	s_load_dwordx2 s[0:1], s[0:1], 0x0
	s_waitcnt lgkmcnt(0)
	s_sub_u32 s6, s0, s16
	s_subb_u32 s7, s1, 0
.LBB52_7:
	s_load_dwordx2 s[22:23], s[4:5], 0x40
	v_lshrrev_b32_e32 v1, 4, v0
	v_mov_b32_e32 v2, 0
	s_mov_b32 s0, exec_lo
	s_waitcnt lgkmcnt(0)
	v_cmpx_gt_i64_e64 s[22:23], v[1:2]
	s_cbranch_execz .LBB52_26
; %bb.8:
	s_load_dwordx8 s[8:15], s[4:5], 0x20
	s_lshl_b64 s[26:27], s[6:7], 3
	v_and_b32_e32 v3, 15, v0
	v_mbcnt_lo_u32_b32 v0, -1, 0
	s_load_dword s21, s[4:5], 0x0
	s_mul_i32 s31, s6, s23
	s_mul_hi_u32 s33, s6, s22
	s_mul_i32 s30, s6, s22
	v_xor_b32_e32 v5, 8, v0
	s_mul_i32 s34, s7, s22
	v_xor_b32_e32 v6, 4, v0
	v_xor_b32_e32 v7, 2, v0
	;; [unrolled: 1-line block ×3, first 2 shown]
	v_cmp_gt_i32_e32 vcc_lo, 32, v5
	v_mov_b32_e32 v4, v2
	s_mul_i32 s35, s22, s23
	s_mul_hi_u32 s36, s22, s22
	v_cmp_eq_f32_e64 s19, s20, 0
	v_cndmask_b32_e32 v9, v0, v5, vcc_lo
	v_cmp_gt_i32_e32 vcc_lo, 32, v6
	s_waitcnt lgkmcnt(0)
	s_add_u32 s28, s8, s26
	s_addc_u32 s29, s9, s27
	v_cmp_gt_u64_e64 s0, s[22:23], v[3:4]
	s_load_dwordx2 s[24:25], s[28:29], 0x0
	s_clause 0x1
	s_load_dwordx2 s[2:3], s[4:5], 0x58
	s_load_dwordx2 s[8:9], s[4:5], 0x48
	v_cndmask_b32_e32 v10, v0, v6, vcc_lo
	v_cmp_gt_i32_e32 vcc_lo, 32, v7
	s_mov_b32 s17, 0
	v_lshlrev_b32_e32 v13, 2, v10
	v_cndmask_b32_e32 v7, v0, v7, vcc_lo
	v_cmp_gt_i32_e32 vcc_lo, 32, v8
	v_lshlrev_b32_e32 v14, 2, v7
	v_cndmask_b32_e32 v8, v0, v8, vcc_lo
	v_lshlrev_b32_e32 v0, 2, v9
	v_lshlrev_b32_e32 v15, 2, v8
	s_waitcnt lgkmcnt(0)
	s_sub_u32 s4, s24, s16
	s_subb_u32 s5, s25, 0
	s_add_u32 s1, s28, 8
	s_addc_u32 s6, s29, 0
	s_add_u32 s26, s10, s26
	s_addc_u32 s7, s11, s27
	s_cmp_eq_u64 s[10:11], 0
	v_mad_u64_u32 v[5:6], null, s22, s4, v[1:2]
	s_cselect_b32 s7, s6, s7
	s_cselect_b32 s6, s1, s26
	v_cmp_eq_u32_e64 s1, 15, v3
	s_load_dwordx2 s[10:11], s[6:7], 0x0
	s_mul_i32 s6, s23, s4
	s_mul_i32 s7, s22, s5
	v_mul_lo_u32 v10, s23, v5
	v_add3_u32 v9, s7, s6, v6
	v_mad_u64_u32 v[5:6], null, s22, v5, 0
	s_mul_i32 s28, s22, s22
	v_mul_lo_u32 v9, s22, v9
	v_add3_u32 v6, v6, v9, v10
	s_waitcnt lgkmcnt(0)
	s_sub_u32 s6, s10, s16
	s_subb_u32 s7, s11, 0
	s_cmp_lg_u32 s21, 0
	v_cmp_lt_i64_e64 s24, s[24:25], s[10:11]
	s_cselect_b32 s21, -1, 0
	s_add_i32 s26, s33, s31
	s_add_i32 s31, s26, s34
	s_lshl_b64 s[26:27], s[30:31], 2
	s_add_u32 s25, s2, s26
	s_addc_u32 s26, s3, s27
	s_add_i32 s2, s36, s35
	s_lshl_b64 s[10:11], s[22:23], 4
	s_add_i32 s27, s2, s35
	s_branch .LBB52_10
.LBB52_9:                               ;   in Loop: Header=BB52_10 Depth=1
	s_or_b32 exec_lo, exec_lo, s2
	v_add_co_u32 v1, vcc_lo, v1, 16
	v_add_co_ci_u32_e64 v2, null, 0, v2, vcc_lo
	v_add_co_u32 v5, s2, v5, s10
	v_add_co_ci_u32_e64 v6, null, s11, v6, s2
	v_cmp_le_i64_e32 vcc_lo, s[22:23], v[1:2]
	s_or_b32 s17, vcc_lo, s17
	s_andn2_b32 exec_lo, exec_lo, s17
	s_cbranch_execz .LBB52_26
.LBB52_10:                              ; =>This Loop Header: Depth=1
                                        ;     Child Loop BB52_14 Depth 2
                                        ;       Child Loop BB52_17 Depth 3
	v_mov_b32_e32 v16, 0
	s_andn2_b32 vcc_lo, exec_lo, s24
	s_cbranch_vccnz .LBB52_21
; %bb.11:                               ;   in Loop: Header=BB52_10 Depth=1
	s_waitcnt lgkmcnt(0)
	v_mov_b32_e32 v8, v6
	v_mov_b32_e32 v16, 0
	v_mov_b32_e32 v7, v5
	s_mov_b64 s[2:3], s[4:5]
	s_branch .LBB52_14
.LBB52_12:                              ;   in Loop: Header=BB52_14 Depth=2
	s_or_b32 exec_lo, exec_lo, s34
.LBB52_13:                              ;   in Loop: Header=BB52_14 Depth=2
	s_or_b32 exec_lo, exec_lo, s29
	s_add_u32 s2, s2, 1
	s_addc_u32 s3, s3, 0
	v_add_co_u32 v7, vcc_lo, v7, s28
	v_cmp_ge_i64_e64 s29, s[2:3], s[6:7]
	v_add_co_ci_u32_e64 v8, null, s27, v8, vcc_lo
	s_and_b32 vcc_lo, exec_lo, s29
	s_cbranch_vccnz .LBB52_21
.LBB52_14:                              ;   Parent Loop BB52_10 Depth=1
                                        ; =>  This Loop Header: Depth=2
                                        ;       Child Loop BB52_17 Depth 3
	s_and_saveexec_b32 s29, s0
	s_cbranch_execz .LBB52_13
; %bb.15:                               ;   in Loop: Header=BB52_14 Depth=2
	s_lshl_b64 s[30:31], s[2:3], 3
	s_mul_hi_u32 s33, s2, s22
	s_add_u32 s30, s12, s30
	s_addc_u32 s31, s13, s31
	s_mul_i32 s36, s3, s22
	s_load_dwordx2 s[34:35], s[30:31], 0x0
	s_mul_i32 s31, s2, s23
	v_mov_b32_e32 v10, v4
	v_mov_b32_e32 v9, v3
	s_mul_i32 s30, s2, s22
	s_waitcnt lgkmcnt(0)
	s_sub_u32 s34, s34, s16
	s_subb_u32 s35, s35, 0
	s_add_i32 s31, s33, s31
	s_mul_i32 s33, s34, s23
	s_mul_hi_u32 s37, s34, s22
	s_mul_i32 s35, s35, s22
	s_add_i32 s33, s37, s33
	s_mul_i32 s34, s34, s22
	s_add_i32 s31, s31, s36
	s_add_i32 s35, s33, s35
	s_add_u32 s33, s8, s34
	s_addc_u32 s35, s9, s35
	s_mov_b32 s34, 0
	s_branch .LBB52_17
.LBB52_16:                              ;   in Loop: Header=BB52_17 Depth=3
	v_add_co_u32 v11, vcc_lo, s14, v11
	v_add_co_ci_u32_e64 v12, null, s15, v12, vcc_lo
	v_add_co_u32 v17, vcc_lo, s33, v9
	v_add_co_ci_u32_e64 v18, null, s35, v10, vcc_lo
	global_load_sbyte v11, v[11:12], off
	global_load_sbyte v12, v[17:18], off
	v_add_co_u32 v9, vcc_lo, v9, 16
	v_add_co_ci_u32_e64 v10, null, 0, v10, vcc_lo
	v_cmp_le_i64_e32 vcc_lo, s[22:23], v[9:10]
	s_or_b32 s34, vcc_lo, s34
	s_waitcnt vmcnt(1)
	v_cvt_f32_i32_e32 v11, v11
	s_waitcnt vmcnt(0)
	v_cvt_f32_i32_e32 v12, v12
	v_fmac_f32_e32 v16, v11, v12
	s_andn2_b32 exec_lo, exec_lo, s34
	s_cbranch_execz .LBB52_12
.LBB52_17:                              ;   Parent Loop BB52_10 Depth=1
                                        ;     Parent Loop BB52_14 Depth=2
                                        ; =>    This Inner Loop Header: Depth=3
	s_and_b32 vcc_lo, exec_lo, s21
	s_cbranch_vccz .LBB52_19
; %bb.18:                               ;   in Loop: Header=BB52_17 Depth=3
	v_add_co_u32 v11, vcc_lo, v9, s30
	v_add_co_ci_u32_e64 v12, null, s31, v10, vcc_lo
	v_mul_lo_u32 v17, v11, s23
	v_mul_lo_u32 v18, v12, s22
	v_mad_u64_u32 v[11:12], null, v11, s22, v[1:2]
	v_add3_u32 v12, v18, v12, v17
	s_cbranch_execnz .LBB52_16
	s_branch .LBB52_20
.LBB52_19:                              ;   in Loop: Header=BB52_17 Depth=3
                                        ; implicit-def: $vgpr11_vgpr12
.LBB52_20:                              ;   in Loop: Header=BB52_17 Depth=3
	v_add_co_u32 v11, vcc_lo, v7, v9
	v_add_co_ci_u32_e64 v12, null, v8, v10, vcc_lo
	s_branch .LBB52_16
.LBB52_21:                              ;   in Loop: Header=BB52_10 Depth=1
	ds_bpermute_b32 v7, v0, v16
	s_waitcnt lgkmcnt(0)
	v_add_f32_e32 v7, v16, v7
	ds_bpermute_b32 v8, v13, v7
	s_waitcnt lgkmcnt(0)
	v_add_f32_e32 v7, v7, v8
	;; [unrolled: 3-line block ×3, first 2 shown]
	ds_bpermute_b32 v8, v15, v7
	s_and_saveexec_b32 s2, s1
	s_cbranch_execz .LBB52_9
; %bb.22:                               ;   in Loop: Header=BB52_10 Depth=1
	s_waitcnt lgkmcnt(0)
	v_add_f32_e32 v9, v7, v8
	v_lshlrev_b64 v[7:8], 2, v[1:2]
	s_and_b32 vcc_lo, exec_lo, s19
	v_mul_f32_e32 v9, s18, v9
	s_cbranch_vccz .LBB52_24
; %bb.23:                               ;   in Loop: Header=BB52_10 Depth=1
	v_add_co_u32 v10, vcc_lo, s25, v7
	v_add_co_ci_u32_e64 v11, null, s26, v8, vcc_lo
	global_store_dword v[10:11], v9, off
	s_cbranch_execnz .LBB52_9
	s_branch .LBB52_25
.LBB52_24:                              ;   in Loop: Header=BB52_10 Depth=1
.LBB52_25:                              ;   in Loop: Header=BB52_10 Depth=1
	v_add_co_u32 v7, vcc_lo, s25, v7
	v_add_co_ci_u32_e64 v8, null, s26, v8, vcc_lo
	global_load_dword v10, v[7:8], off
	s_waitcnt vmcnt(0)
	v_fmac_f32_e32 v9, s20, v10
	global_store_dword v[7:8], v9, off
	s_branch .LBB52_9
.LBB52_26:
	s_endpgm
	.section	.rodata,"a",@progbits
	.p2align	6, 0x0
	.amdhsa_kernel _ZN9rocsparseL22bsrxmvn_general_kernelILj256ELj16EfllaafEEv20rocsparse_direction_NS_24const_host_device_scalarIT1_EET3_PKS5_PKT2_SA_S7_PKT4_S5_PKT5_S4_PT6_21rocsparse_index_base_b
		.amdhsa_group_segment_fixed_size 0
		.amdhsa_private_segment_fixed_size 0
		.amdhsa_kernarg_size 104
		.amdhsa_user_sgpr_count 6
		.amdhsa_user_sgpr_private_segment_buffer 1
		.amdhsa_user_sgpr_dispatch_ptr 0
		.amdhsa_user_sgpr_queue_ptr 0
		.amdhsa_user_sgpr_kernarg_segment_ptr 1
		.amdhsa_user_sgpr_dispatch_id 0
		.amdhsa_user_sgpr_flat_scratch_init 0
		.amdhsa_user_sgpr_private_segment_size 0
		.amdhsa_wavefront_size32 1
		.amdhsa_uses_dynamic_stack 0
		.amdhsa_system_sgpr_private_segment_wavefront_offset 0
		.amdhsa_system_sgpr_workgroup_id_x 1
		.amdhsa_system_sgpr_workgroup_id_y 0
		.amdhsa_system_sgpr_workgroup_id_z 0
		.amdhsa_system_sgpr_workgroup_info 0
		.amdhsa_system_vgpr_workitem_id 0
		.amdhsa_next_free_vgpr 19
		.amdhsa_next_free_sgpr 38
		.amdhsa_reserve_vcc 1
		.amdhsa_reserve_flat_scratch 0
		.amdhsa_float_round_mode_32 0
		.amdhsa_float_round_mode_16_64 0
		.amdhsa_float_denorm_mode_32 3
		.amdhsa_float_denorm_mode_16_64 3
		.amdhsa_dx10_clamp 1
		.amdhsa_ieee_mode 1
		.amdhsa_fp16_overflow 0
		.amdhsa_workgroup_processor_mode 1
		.amdhsa_memory_ordered 1
		.amdhsa_forward_progress 1
		.amdhsa_shared_vgpr_count 0
		.amdhsa_exception_fp_ieee_invalid_op 0
		.amdhsa_exception_fp_denorm_src 0
		.amdhsa_exception_fp_ieee_div_zero 0
		.amdhsa_exception_fp_ieee_overflow 0
		.amdhsa_exception_fp_ieee_underflow 0
		.amdhsa_exception_fp_ieee_inexact 0
		.amdhsa_exception_int_div_zero 0
	.end_amdhsa_kernel
	.section	.text._ZN9rocsparseL22bsrxmvn_general_kernelILj256ELj16EfllaafEEv20rocsparse_direction_NS_24const_host_device_scalarIT1_EET3_PKS5_PKT2_SA_S7_PKT4_S5_PKT5_S4_PT6_21rocsparse_index_base_b,"axG",@progbits,_ZN9rocsparseL22bsrxmvn_general_kernelILj256ELj16EfllaafEEv20rocsparse_direction_NS_24const_host_device_scalarIT1_EET3_PKS5_PKT2_SA_S7_PKT4_S5_PKT5_S4_PT6_21rocsparse_index_base_b,comdat
.Lfunc_end52:
	.size	_ZN9rocsparseL22bsrxmvn_general_kernelILj256ELj16EfllaafEEv20rocsparse_direction_NS_24const_host_device_scalarIT1_EET3_PKS5_PKT2_SA_S7_PKT4_S5_PKT5_S4_PT6_21rocsparse_index_base_b, .Lfunc_end52-_ZN9rocsparseL22bsrxmvn_general_kernelILj256ELj16EfllaafEEv20rocsparse_direction_NS_24const_host_device_scalarIT1_EET3_PKS5_PKT2_SA_S7_PKT4_S5_PKT5_S4_PT6_21rocsparse_index_base_b
                                        ; -- End function
	.set _ZN9rocsparseL22bsrxmvn_general_kernelILj256ELj16EfllaafEEv20rocsparse_direction_NS_24const_host_device_scalarIT1_EET3_PKS5_PKT2_SA_S7_PKT4_S5_PKT5_S4_PT6_21rocsparse_index_base_b.num_vgpr, 19
	.set _ZN9rocsparseL22bsrxmvn_general_kernelILj256ELj16EfllaafEEv20rocsparse_direction_NS_24const_host_device_scalarIT1_EET3_PKS5_PKT2_SA_S7_PKT4_S5_PKT5_S4_PT6_21rocsparse_index_base_b.num_agpr, 0
	.set _ZN9rocsparseL22bsrxmvn_general_kernelILj256ELj16EfllaafEEv20rocsparse_direction_NS_24const_host_device_scalarIT1_EET3_PKS5_PKT2_SA_S7_PKT4_S5_PKT5_S4_PT6_21rocsparse_index_base_b.numbered_sgpr, 38
	.set _ZN9rocsparseL22bsrxmvn_general_kernelILj256ELj16EfllaafEEv20rocsparse_direction_NS_24const_host_device_scalarIT1_EET3_PKS5_PKT2_SA_S7_PKT4_S5_PKT5_S4_PT6_21rocsparse_index_base_b.num_named_barrier, 0
	.set _ZN9rocsparseL22bsrxmvn_general_kernelILj256ELj16EfllaafEEv20rocsparse_direction_NS_24const_host_device_scalarIT1_EET3_PKS5_PKT2_SA_S7_PKT4_S5_PKT5_S4_PT6_21rocsparse_index_base_b.private_seg_size, 0
	.set _ZN9rocsparseL22bsrxmvn_general_kernelILj256ELj16EfllaafEEv20rocsparse_direction_NS_24const_host_device_scalarIT1_EET3_PKS5_PKT2_SA_S7_PKT4_S5_PKT5_S4_PT6_21rocsparse_index_base_b.uses_vcc, 1
	.set _ZN9rocsparseL22bsrxmvn_general_kernelILj256ELj16EfllaafEEv20rocsparse_direction_NS_24const_host_device_scalarIT1_EET3_PKS5_PKT2_SA_S7_PKT4_S5_PKT5_S4_PT6_21rocsparse_index_base_b.uses_flat_scratch, 0
	.set _ZN9rocsparseL22bsrxmvn_general_kernelILj256ELj16EfllaafEEv20rocsparse_direction_NS_24const_host_device_scalarIT1_EET3_PKS5_PKT2_SA_S7_PKT4_S5_PKT5_S4_PT6_21rocsparse_index_base_b.has_dyn_sized_stack, 0
	.set _ZN9rocsparseL22bsrxmvn_general_kernelILj256ELj16EfllaafEEv20rocsparse_direction_NS_24const_host_device_scalarIT1_EET3_PKS5_PKT2_SA_S7_PKT4_S5_PKT5_S4_PT6_21rocsparse_index_base_b.has_recursion, 0
	.set _ZN9rocsparseL22bsrxmvn_general_kernelILj256ELj16EfllaafEEv20rocsparse_direction_NS_24const_host_device_scalarIT1_EET3_PKS5_PKT2_SA_S7_PKT4_S5_PKT5_S4_PT6_21rocsparse_index_base_b.has_indirect_call, 0
	.section	.AMDGPU.csdata,"",@progbits
; Kernel info:
; codeLenInByte = 1168
; TotalNumSgprs: 40
; NumVgprs: 19
; ScratchSize: 0
; MemoryBound: 0
; FloatMode: 240
; IeeeMode: 1
; LDSByteSize: 0 bytes/workgroup (compile time only)
; SGPRBlocks: 0
; VGPRBlocks: 2
; NumSGPRsForWavesPerEU: 40
; NumVGPRsForWavesPerEU: 19
; Occupancy: 16
; WaveLimiterHint : 1
; COMPUTE_PGM_RSRC2:SCRATCH_EN: 0
; COMPUTE_PGM_RSRC2:USER_SGPR: 6
; COMPUTE_PGM_RSRC2:TRAP_HANDLER: 0
; COMPUTE_PGM_RSRC2:TGID_X_EN: 1
; COMPUTE_PGM_RSRC2:TGID_Y_EN: 0
; COMPUTE_PGM_RSRC2:TGID_Z_EN: 0
; COMPUTE_PGM_RSRC2:TIDIG_COMP_CNT: 0
	.section	.text._ZN9rocsparseL22bsrxmvn_general_kernelILj1024ELj32EfllaafEEv20rocsparse_direction_NS_24const_host_device_scalarIT1_EET3_PKS5_PKT2_SA_S7_PKT4_S5_PKT5_S4_PT6_21rocsparse_index_base_b,"axG",@progbits,_ZN9rocsparseL22bsrxmvn_general_kernelILj1024ELj32EfllaafEEv20rocsparse_direction_NS_24const_host_device_scalarIT1_EET3_PKS5_PKT2_SA_S7_PKT4_S5_PKT5_S4_PT6_21rocsparse_index_base_b,comdat
	.globl	_ZN9rocsparseL22bsrxmvn_general_kernelILj1024ELj32EfllaafEEv20rocsparse_direction_NS_24const_host_device_scalarIT1_EET3_PKS5_PKT2_SA_S7_PKT4_S5_PKT5_S4_PT6_21rocsparse_index_base_b ; -- Begin function _ZN9rocsparseL22bsrxmvn_general_kernelILj1024ELj32EfllaafEEv20rocsparse_direction_NS_24const_host_device_scalarIT1_EET3_PKS5_PKT2_SA_S7_PKT4_S5_PKT5_S4_PT6_21rocsparse_index_base_b
	.p2align	8
	.type	_ZN9rocsparseL22bsrxmvn_general_kernelILj1024ELj32EfllaafEEv20rocsparse_direction_NS_24const_host_device_scalarIT1_EET3_PKS5_PKT2_SA_S7_PKT4_S5_PKT5_S4_PT6_21rocsparse_index_base_b,@function
_ZN9rocsparseL22bsrxmvn_general_kernelILj1024ELj32EfllaafEEv20rocsparse_direction_NS_24const_host_device_scalarIT1_EET3_PKS5_PKT2_SA_S7_PKT4_S5_PKT5_S4_PT6_21rocsparse_index_base_b: ; @_ZN9rocsparseL22bsrxmvn_general_kernelILj1024ELj32EfllaafEEv20rocsparse_direction_NS_24const_host_device_scalarIT1_EET3_PKS5_PKT2_SA_S7_PKT4_S5_PKT5_S4_PT6_21rocsparse_index_base_b
; %bb.0:
	s_clause 0x2
	s_load_dwordx2 s[16:17], s[4:5], 0x60
	s_load_dwordx2 s[18:19], s[4:5], 0x8
	;; [unrolled: 1-line block ×3, first 2 shown]
	s_waitcnt lgkmcnt(0)
	s_bitcmp1_b32 s17, 0
	s_cselect_b32 s0, -1, 0
	s_and_b32 vcc_lo, exec_lo, s0
	s_xor_b32 s0, s0, -1
	s_cbranch_vccnz .LBB53_2
; %bb.1:
	s_load_dword s18, s[18:19], 0x0
.LBB53_2:
	s_andn2_b32 vcc_lo, exec_lo, s0
	s_cbranch_vccnz .LBB53_4
; %bb.3:
	s_load_dword s20, s[20:21], 0x0
.LBB53_4:
	s_waitcnt lgkmcnt(0)
	v_cmp_neq_f32_e64 s0, s18, 0
	v_cmp_neq_f32_e64 s1, s20, 1.0
	s_mov_b32 s7, 0
	s_or_b32 s0, s0, s1
	s_andn2_b32 vcc_lo, exec_lo, s0
	s_cbranch_vccnz .LBB53_26
; %bb.5:
	s_load_dwordx2 s[0:1], s[4:5], 0x18
	s_waitcnt lgkmcnt(0)
	s_cmp_eq_u64 s[0:1], 0
	s_cbranch_scc1 .LBB53_7
; %bb.6:
	s_lshl_b64 s[2:3], s[6:7], 3
	s_add_u32 s0, s0, s2
	s_addc_u32 s1, s1, s3
	s_load_dwordx2 s[0:1], s[0:1], 0x0
	s_waitcnt lgkmcnt(0)
	s_sub_u32 s6, s0, s16
	s_subb_u32 s7, s1, 0
.LBB53_7:
	s_load_dwordx2 s[22:23], s[4:5], 0x40
	v_lshrrev_b32_e32 v1, 5, v0
	v_mov_b32_e32 v2, 0
	s_mov_b32 s0, exec_lo
	s_waitcnt lgkmcnt(0)
	v_cmpx_gt_i64_e64 s[22:23], v[1:2]
	s_cbranch_execz .LBB53_26
; %bb.8:
	s_load_dwordx8 s[8:15], s[4:5], 0x20
	s_lshl_b64 s[26:27], s[6:7], 3
	v_and_b32_e32 v3, 31, v0
	v_mbcnt_lo_u32_b32 v0, -1, 0
	s_load_dword s21, s[4:5], 0x0
	s_mul_i32 s31, s6, s23
	s_mul_hi_u32 s33, s6, s22
	s_mul_i32 s30, s6, s22
	v_xor_b32_e32 v5, 16, v0
	v_xor_b32_e32 v6, 8, v0
	s_mul_i32 s34, s7, s22
	v_xor_b32_e32 v7, 4, v0
	v_xor_b32_e32 v8, 2, v0
	v_cmp_gt_i32_e32 vcc_lo, 32, v5
	v_xor_b32_e32 v9, 1, v0
	v_mov_b32_e32 v4, v2
	s_mul_i32 s35, s22, s23
	s_mul_hi_u32 s36, s22, s22
	v_cndmask_b32_e32 v10, v0, v5, vcc_lo
	v_cmp_gt_i32_e32 vcc_lo, 32, v6
	s_waitcnt lgkmcnt(0)
	s_add_u32 s28, s8, s26
	s_addc_u32 s29, s9, s27
	v_cmp_gt_u64_e64 s0, s[22:23], v[3:4]
	s_load_dwordx2 s[24:25], s[28:29], 0x0
	s_clause 0x1
	s_load_dwordx2 s[2:3], s[4:5], 0x58
	s_load_dwordx2 s[8:9], s[4:5], 0x48
	v_cndmask_b32_e32 v11, v0, v6, vcc_lo
	v_cmp_gt_i32_e32 vcc_lo, 32, v7
	v_cmp_eq_f32_e64 s19, s20, 0
	v_cmp_eq_u32_e64 s1, 31, v3
	s_mov_b32 s17, 0
	v_lshlrev_b32_e32 v13, 2, v11
	v_cndmask_b32_e32 v7, v0, v7, vcc_lo
	v_cmp_gt_i32_e32 vcc_lo, 32, v8
	v_lshlrev_b32_e32 v14, 2, v7
	v_cndmask_b32_e32 v8, v0, v8, vcc_lo
	v_cmp_gt_i32_e32 vcc_lo, 32, v9
	v_lshlrev_b32_e32 v15, 2, v8
	s_waitcnt lgkmcnt(0)
	s_sub_u32 s4, s24, s16
	s_subb_u32 s5, s25, 0
	s_add_u32 s6, s28, 8
	s_addc_u32 s7, s29, 0
	s_add_u32 s26, s10, s26
	s_addc_u32 s27, s11, s27
	s_cmp_eq_u64 s[10:11], 0
	v_mad_u64_u32 v[5:6], null, s22, s4, v[1:2]
	s_cselect_b32 s7, s7, s27
	s_cselect_b32 s6, s6, s26
	v_cndmask_b32_e32 v9, v0, v9, vcc_lo
	s_load_dwordx2 s[10:11], s[6:7], 0x0
	s_mul_i32 s6, s23, s4
	s_mul_i32 s7, s22, s5
	v_lshlrev_b32_e32 v0, 2, v10
	v_add3_u32 v10, s7, s6, v6
	v_mul_lo_u32 v7, s23, v5
	v_mad_u64_u32 v[5:6], null, s22, v5, 0
	v_lshlrev_b32_e32 v16, 2, v9
	v_mul_lo_u32 v10, s22, v10
	s_mul_i32 s28, s22, s22
	v_add3_u32 v6, v6, v10, v7
	s_waitcnt lgkmcnt(0)
	s_sub_u32 s6, s10, s16
	s_subb_u32 s7, s11, 0
	s_cmp_lg_u32 s21, 0
	v_cmp_lt_i64_e64 s24, s[24:25], s[10:11]
	s_cselect_b32 s21, -1, 0
	s_add_i32 s26, s33, s31
	s_add_i32 s31, s26, s34
	s_lshl_b64 s[26:27], s[30:31], 2
	s_add_u32 s25, s2, s26
	s_addc_u32 s26, s3, s27
	s_add_i32 s2, s36, s35
	s_lshl_b64 s[10:11], s[22:23], 5
	s_add_i32 s27, s2, s35
	s_branch .LBB53_10
.LBB53_9:                               ;   in Loop: Header=BB53_10 Depth=1
	s_or_b32 exec_lo, exec_lo, s2
	v_add_co_u32 v1, vcc_lo, v1, 32
	v_add_co_ci_u32_e64 v2, null, 0, v2, vcc_lo
	v_add_co_u32 v5, s2, v5, s10
	v_add_co_ci_u32_e64 v6, null, s11, v6, s2
	v_cmp_le_i64_e32 vcc_lo, s[22:23], v[1:2]
	s_or_b32 s17, vcc_lo, s17
	s_andn2_b32 exec_lo, exec_lo, s17
	s_cbranch_execz .LBB53_26
.LBB53_10:                              ; =>This Loop Header: Depth=1
                                        ;     Child Loop BB53_14 Depth 2
                                        ;       Child Loop BB53_17 Depth 3
	v_mov_b32_e32 v17, 0
	s_andn2_b32 vcc_lo, exec_lo, s24
	s_cbranch_vccnz .LBB53_21
; %bb.11:                               ;   in Loop: Header=BB53_10 Depth=1
	s_waitcnt lgkmcnt(0)
	v_mov_b32_e32 v8, v6
	v_mov_b32_e32 v17, 0
	;; [unrolled: 1-line block ×3, first 2 shown]
	s_mov_b64 s[2:3], s[4:5]
	s_branch .LBB53_14
.LBB53_12:                              ;   in Loop: Header=BB53_14 Depth=2
	s_or_b32 exec_lo, exec_lo, s34
.LBB53_13:                              ;   in Loop: Header=BB53_14 Depth=2
	s_or_b32 exec_lo, exec_lo, s29
	s_add_u32 s2, s2, 1
	s_addc_u32 s3, s3, 0
	v_add_co_u32 v7, vcc_lo, v7, s28
	v_cmp_ge_i64_e64 s29, s[2:3], s[6:7]
	v_add_co_ci_u32_e64 v8, null, s27, v8, vcc_lo
	s_and_b32 vcc_lo, exec_lo, s29
	s_cbranch_vccnz .LBB53_21
.LBB53_14:                              ;   Parent Loop BB53_10 Depth=1
                                        ; =>  This Loop Header: Depth=2
                                        ;       Child Loop BB53_17 Depth 3
	s_and_saveexec_b32 s29, s0
	s_cbranch_execz .LBB53_13
; %bb.15:                               ;   in Loop: Header=BB53_14 Depth=2
	s_lshl_b64 s[30:31], s[2:3], 3
	s_mul_hi_u32 s33, s2, s22
	s_add_u32 s30, s12, s30
	s_addc_u32 s31, s13, s31
	s_mul_i32 s36, s3, s22
	s_load_dwordx2 s[34:35], s[30:31], 0x0
	s_mul_i32 s31, s2, s23
	v_mov_b32_e32 v10, v4
	v_mov_b32_e32 v9, v3
	s_mul_i32 s30, s2, s22
	s_waitcnt lgkmcnt(0)
	s_sub_u32 s34, s34, s16
	s_subb_u32 s35, s35, 0
	s_add_i32 s31, s33, s31
	s_mul_i32 s33, s34, s23
	s_mul_hi_u32 s37, s34, s22
	s_mul_i32 s35, s35, s22
	s_add_i32 s33, s37, s33
	s_mul_i32 s34, s34, s22
	s_add_i32 s31, s31, s36
	s_add_i32 s35, s33, s35
	s_add_u32 s33, s8, s34
	s_addc_u32 s35, s9, s35
	s_mov_b32 s34, 0
	s_branch .LBB53_17
.LBB53_16:                              ;   in Loop: Header=BB53_17 Depth=3
	v_add_co_u32 v11, vcc_lo, s14, v11
	v_add_co_ci_u32_e64 v12, null, s15, v12, vcc_lo
	v_add_co_u32 v18, vcc_lo, s33, v9
	v_add_co_ci_u32_e64 v19, null, s35, v10, vcc_lo
	global_load_sbyte v11, v[11:12], off
	global_load_sbyte v12, v[18:19], off
	v_add_co_u32 v9, vcc_lo, v9, 32
	v_add_co_ci_u32_e64 v10, null, 0, v10, vcc_lo
	v_cmp_le_i64_e32 vcc_lo, s[22:23], v[9:10]
	s_or_b32 s34, vcc_lo, s34
	s_waitcnt vmcnt(1)
	v_cvt_f32_i32_e32 v11, v11
	s_waitcnt vmcnt(0)
	v_cvt_f32_i32_e32 v12, v12
	v_fmac_f32_e32 v17, v11, v12
	s_andn2_b32 exec_lo, exec_lo, s34
	s_cbranch_execz .LBB53_12
.LBB53_17:                              ;   Parent Loop BB53_10 Depth=1
                                        ;     Parent Loop BB53_14 Depth=2
                                        ; =>    This Inner Loop Header: Depth=3
	s_and_b32 vcc_lo, exec_lo, s21
	s_cbranch_vccz .LBB53_19
; %bb.18:                               ;   in Loop: Header=BB53_17 Depth=3
	v_add_co_u32 v11, vcc_lo, v9, s30
	v_add_co_ci_u32_e64 v12, null, s31, v10, vcc_lo
	v_mul_lo_u32 v18, v11, s23
	v_mul_lo_u32 v19, v12, s22
	v_mad_u64_u32 v[11:12], null, v11, s22, v[1:2]
	v_add3_u32 v12, v19, v12, v18
	s_cbranch_execnz .LBB53_16
	s_branch .LBB53_20
.LBB53_19:                              ;   in Loop: Header=BB53_17 Depth=3
                                        ; implicit-def: $vgpr11_vgpr12
.LBB53_20:                              ;   in Loop: Header=BB53_17 Depth=3
	v_add_co_u32 v11, vcc_lo, v7, v9
	v_add_co_ci_u32_e64 v12, null, v8, v10, vcc_lo
	s_branch .LBB53_16
.LBB53_21:                              ;   in Loop: Header=BB53_10 Depth=1
	ds_bpermute_b32 v7, v0, v17
	s_waitcnt lgkmcnt(0)
	v_add_f32_e32 v7, v17, v7
	ds_bpermute_b32 v8, v13, v7
	s_waitcnt lgkmcnt(0)
	v_add_f32_e32 v7, v7, v8
	;; [unrolled: 3-line block ×4, first 2 shown]
	ds_bpermute_b32 v8, v16, v7
	s_and_saveexec_b32 s2, s1
	s_cbranch_execz .LBB53_9
; %bb.22:                               ;   in Loop: Header=BB53_10 Depth=1
	s_waitcnt lgkmcnt(0)
	v_add_f32_e32 v9, v7, v8
	v_lshlrev_b64 v[7:8], 2, v[1:2]
	s_and_b32 vcc_lo, exec_lo, s19
	v_mul_f32_e32 v9, s18, v9
	s_cbranch_vccz .LBB53_24
; %bb.23:                               ;   in Loop: Header=BB53_10 Depth=1
	v_add_co_u32 v10, vcc_lo, s25, v7
	v_add_co_ci_u32_e64 v11, null, s26, v8, vcc_lo
	global_store_dword v[10:11], v9, off
	s_cbranch_execnz .LBB53_9
	s_branch .LBB53_25
.LBB53_24:                              ;   in Loop: Header=BB53_10 Depth=1
.LBB53_25:                              ;   in Loop: Header=BB53_10 Depth=1
	v_add_co_u32 v7, vcc_lo, s25, v7
	v_add_co_ci_u32_e64 v8, null, s26, v8, vcc_lo
	global_load_dword v10, v[7:8], off
	s_waitcnt vmcnt(0)
	v_fmac_f32_e32 v9, s20, v10
	global_store_dword v[7:8], v9, off
	s_branch .LBB53_9
.LBB53_26:
	s_endpgm
	.section	.rodata,"a",@progbits
	.p2align	6, 0x0
	.amdhsa_kernel _ZN9rocsparseL22bsrxmvn_general_kernelILj1024ELj32EfllaafEEv20rocsparse_direction_NS_24const_host_device_scalarIT1_EET3_PKS5_PKT2_SA_S7_PKT4_S5_PKT5_S4_PT6_21rocsparse_index_base_b
		.amdhsa_group_segment_fixed_size 0
		.amdhsa_private_segment_fixed_size 0
		.amdhsa_kernarg_size 104
		.amdhsa_user_sgpr_count 6
		.amdhsa_user_sgpr_private_segment_buffer 1
		.amdhsa_user_sgpr_dispatch_ptr 0
		.amdhsa_user_sgpr_queue_ptr 0
		.amdhsa_user_sgpr_kernarg_segment_ptr 1
		.amdhsa_user_sgpr_dispatch_id 0
		.amdhsa_user_sgpr_flat_scratch_init 0
		.amdhsa_user_sgpr_private_segment_size 0
		.amdhsa_wavefront_size32 1
		.amdhsa_uses_dynamic_stack 0
		.amdhsa_system_sgpr_private_segment_wavefront_offset 0
		.amdhsa_system_sgpr_workgroup_id_x 1
		.amdhsa_system_sgpr_workgroup_id_y 0
		.amdhsa_system_sgpr_workgroup_id_z 0
		.amdhsa_system_sgpr_workgroup_info 0
		.amdhsa_system_vgpr_workitem_id 0
		.amdhsa_next_free_vgpr 20
		.amdhsa_next_free_sgpr 38
		.amdhsa_reserve_vcc 1
		.amdhsa_reserve_flat_scratch 0
		.amdhsa_float_round_mode_32 0
		.amdhsa_float_round_mode_16_64 0
		.amdhsa_float_denorm_mode_32 3
		.amdhsa_float_denorm_mode_16_64 3
		.amdhsa_dx10_clamp 1
		.amdhsa_ieee_mode 1
		.amdhsa_fp16_overflow 0
		.amdhsa_workgroup_processor_mode 1
		.amdhsa_memory_ordered 1
		.amdhsa_forward_progress 1
		.amdhsa_shared_vgpr_count 0
		.amdhsa_exception_fp_ieee_invalid_op 0
		.amdhsa_exception_fp_denorm_src 0
		.amdhsa_exception_fp_ieee_div_zero 0
		.amdhsa_exception_fp_ieee_overflow 0
		.amdhsa_exception_fp_ieee_underflow 0
		.amdhsa_exception_fp_ieee_inexact 0
		.amdhsa_exception_int_div_zero 0
	.end_amdhsa_kernel
	.section	.text._ZN9rocsparseL22bsrxmvn_general_kernelILj1024ELj32EfllaafEEv20rocsparse_direction_NS_24const_host_device_scalarIT1_EET3_PKS5_PKT2_SA_S7_PKT4_S5_PKT5_S4_PT6_21rocsparse_index_base_b,"axG",@progbits,_ZN9rocsparseL22bsrxmvn_general_kernelILj1024ELj32EfllaafEEv20rocsparse_direction_NS_24const_host_device_scalarIT1_EET3_PKS5_PKT2_SA_S7_PKT4_S5_PKT5_S4_PT6_21rocsparse_index_base_b,comdat
.Lfunc_end53:
	.size	_ZN9rocsparseL22bsrxmvn_general_kernelILj1024ELj32EfllaafEEv20rocsparse_direction_NS_24const_host_device_scalarIT1_EET3_PKS5_PKT2_SA_S7_PKT4_S5_PKT5_S4_PT6_21rocsparse_index_base_b, .Lfunc_end53-_ZN9rocsparseL22bsrxmvn_general_kernelILj1024ELj32EfllaafEEv20rocsparse_direction_NS_24const_host_device_scalarIT1_EET3_PKS5_PKT2_SA_S7_PKT4_S5_PKT5_S4_PT6_21rocsparse_index_base_b
                                        ; -- End function
	.set _ZN9rocsparseL22bsrxmvn_general_kernelILj1024ELj32EfllaafEEv20rocsparse_direction_NS_24const_host_device_scalarIT1_EET3_PKS5_PKT2_SA_S7_PKT4_S5_PKT5_S4_PT6_21rocsparse_index_base_b.num_vgpr, 20
	.set _ZN9rocsparseL22bsrxmvn_general_kernelILj1024ELj32EfllaafEEv20rocsparse_direction_NS_24const_host_device_scalarIT1_EET3_PKS5_PKT2_SA_S7_PKT4_S5_PKT5_S4_PT6_21rocsparse_index_base_b.num_agpr, 0
	.set _ZN9rocsparseL22bsrxmvn_general_kernelILj1024ELj32EfllaafEEv20rocsparse_direction_NS_24const_host_device_scalarIT1_EET3_PKS5_PKT2_SA_S7_PKT4_S5_PKT5_S4_PT6_21rocsparse_index_base_b.numbered_sgpr, 38
	.set _ZN9rocsparseL22bsrxmvn_general_kernelILj1024ELj32EfllaafEEv20rocsparse_direction_NS_24const_host_device_scalarIT1_EET3_PKS5_PKT2_SA_S7_PKT4_S5_PKT5_S4_PT6_21rocsparse_index_base_b.num_named_barrier, 0
	.set _ZN9rocsparseL22bsrxmvn_general_kernelILj1024ELj32EfllaafEEv20rocsparse_direction_NS_24const_host_device_scalarIT1_EET3_PKS5_PKT2_SA_S7_PKT4_S5_PKT5_S4_PT6_21rocsparse_index_base_b.private_seg_size, 0
	.set _ZN9rocsparseL22bsrxmvn_general_kernelILj1024ELj32EfllaafEEv20rocsparse_direction_NS_24const_host_device_scalarIT1_EET3_PKS5_PKT2_SA_S7_PKT4_S5_PKT5_S4_PT6_21rocsparse_index_base_b.uses_vcc, 1
	.set _ZN9rocsparseL22bsrxmvn_general_kernelILj1024ELj32EfllaafEEv20rocsparse_direction_NS_24const_host_device_scalarIT1_EET3_PKS5_PKT2_SA_S7_PKT4_S5_PKT5_S4_PT6_21rocsparse_index_base_b.uses_flat_scratch, 0
	.set _ZN9rocsparseL22bsrxmvn_general_kernelILj1024ELj32EfllaafEEv20rocsparse_direction_NS_24const_host_device_scalarIT1_EET3_PKS5_PKT2_SA_S7_PKT4_S5_PKT5_S4_PT6_21rocsparse_index_base_b.has_dyn_sized_stack, 0
	.set _ZN9rocsparseL22bsrxmvn_general_kernelILj1024ELj32EfllaafEEv20rocsparse_direction_NS_24const_host_device_scalarIT1_EET3_PKS5_PKT2_SA_S7_PKT4_S5_PKT5_S4_PT6_21rocsparse_index_base_b.has_recursion, 0
	.set _ZN9rocsparseL22bsrxmvn_general_kernelILj1024ELj32EfllaafEEv20rocsparse_direction_NS_24const_host_device_scalarIT1_EET3_PKS5_PKT2_SA_S7_PKT4_S5_PKT5_S4_PT6_21rocsparse_index_base_b.has_indirect_call, 0
	.section	.AMDGPU.csdata,"",@progbits
; Kernel info:
; codeLenInByte = 1200
; TotalNumSgprs: 40
; NumVgprs: 20
; ScratchSize: 0
; MemoryBound: 0
; FloatMode: 240
; IeeeMode: 1
; LDSByteSize: 0 bytes/workgroup (compile time only)
; SGPRBlocks: 0
; VGPRBlocks: 2
; NumSGPRsForWavesPerEU: 40
; NumVGPRsForWavesPerEU: 20
; Occupancy: 16
; WaveLimiterHint : 1
; COMPUTE_PGM_RSRC2:SCRATCH_EN: 0
; COMPUTE_PGM_RSRC2:USER_SGPR: 6
; COMPUTE_PGM_RSRC2:TRAP_HANDLER: 0
; COMPUTE_PGM_RSRC2:TGID_X_EN: 1
; COMPUTE_PGM_RSRC2:TGID_Y_EN: 0
; COMPUTE_PGM_RSRC2:TGID_Z_EN: 0
; COMPUTE_PGM_RSRC2:TIDIG_COMP_CNT: 0
	.section	.text._ZN9rocsparseL22bsrxmvn_general_kernelILj64ELj8EfiiDF16_DF16_fEEv20rocsparse_direction_NS_24const_host_device_scalarIT1_EET3_PKS5_PKT2_SA_S7_PKT4_S5_PKT5_S4_PT6_21rocsparse_index_base_b,"axG",@progbits,_ZN9rocsparseL22bsrxmvn_general_kernelILj64ELj8EfiiDF16_DF16_fEEv20rocsparse_direction_NS_24const_host_device_scalarIT1_EET3_PKS5_PKT2_SA_S7_PKT4_S5_PKT5_S4_PT6_21rocsparse_index_base_b,comdat
	.globl	_ZN9rocsparseL22bsrxmvn_general_kernelILj64ELj8EfiiDF16_DF16_fEEv20rocsparse_direction_NS_24const_host_device_scalarIT1_EET3_PKS5_PKT2_SA_S7_PKT4_S5_PKT5_S4_PT6_21rocsparse_index_base_b ; -- Begin function _ZN9rocsparseL22bsrxmvn_general_kernelILj64ELj8EfiiDF16_DF16_fEEv20rocsparse_direction_NS_24const_host_device_scalarIT1_EET3_PKS5_PKT2_SA_S7_PKT4_S5_PKT5_S4_PT6_21rocsparse_index_base_b
	.p2align	8
	.type	_ZN9rocsparseL22bsrxmvn_general_kernelILj64ELj8EfiiDF16_DF16_fEEv20rocsparse_direction_NS_24const_host_device_scalarIT1_EET3_PKS5_PKT2_SA_S7_PKT4_S5_PKT5_S4_PT6_21rocsparse_index_base_b,@function
_ZN9rocsparseL22bsrxmvn_general_kernelILj64ELj8EfiiDF16_DF16_fEEv20rocsparse_direction_NS_24const_host_device_scalarIT1_EET3_PKS5_PKT2_SA_S7_PKT4_S5_PKT5_S4_PT6_21rocsparse_index_base_b: ; @_ZN9rocsparseL22bsrxmvn_general_kernelILj64ELj8EfiiDF16_DF16_fEEv20rocsparse_direction_NS_24const_host_device_scalarIT1_EET3_PKS5_PKT2_SA_S7_PKT4_S5_PKT5_S4_PT6_21rocsparse_index_base_b
; %bb.0:
	s_clause 0x2
	s_load_dwordx2 s[2:3], s[4:5], 0x60
	s_load_dwordx2 s[16:17], s[4:5], 0x8
	;; [unrolled: 1-line block ×3, first 2 shown]
	s_waitcnt lgkmcnt(0)
	s_bitcmp1_b32 s3, 0
	s_cselect_b32 s0, -1, 0
	s_and_b32 vcc_lo, exec_lo, s0
	s_xor_b32 s0, s0, -1
	s_cbranch_vccnz .LBB54_2
; %bb.1:
	s_load_dword s16, s[16:17], 0x0
.LBB54_2:
	s_andn2_b32 vcc_lo, exec_lo, s0
	s_cbranch_vccnz .LBB54_4
; %bb.3:
	s_load_dword s18, s[18:19], 0x0
.LBB54_4:
	s_waitcnt lgkmcnt(0)
	v_cmp_neq_f32_e64 s0, s16, 0
	v_cmp_neq_f32_e64 s1, s18, 1.0
	s_or_b32 s0, s0, s1
	s_andn2_b32 vcc_lo, exec_lo, s0
	s_cbranch_vccnz .LBB54_26
; %bb.5:
	s_load_dwordx2 s[0:1], s[4:5], 0x18
	s_waitcnt lgkmcnt(0)
	s_cmp_eq_u64 s[0:1], 0
	s_cbranch_scc1 .LBB54_7
; %bb.6:
	s_ashr_i32 s7, s6, 31
	s_lshl_b64 s[6:7], s[6:7], 2
	s_add_u32 s0, s0, s6
	s_addc_u32 s1, s1, s7
	s_load_dword s0, s[0:1], 0x0
	s_waitcnt lgkmcnt(0)
	s_sub_i32 s6, s0, s2
.LBB54_7:
	s_load_dword s3, s[4:5], 0x40
	v_lshrrev_b32_e32 v1, 3, v0
	s_mov_b32 s0, exec_lo
	s_waitcnt lgkmcnt(0)
	v_cmpx_gt_i32_e64 s3, v1
	s_cbranch_execz .LBB54_26
; %bb.8:
	s_load_dwordx8 s[8:15], s[4:5], 0x20
	s_ashr_i32 s7, s6, 31
	v_mbcnt_lo_u32_b32 v4, -1, 0
	s_lshl_b64 s[0:1], s[6:7], 2
	v_and_b32_e32 v3, 7, v0
	v_mov_b32_e32 v2, 0
	s_mul_hi_u32 s17, s3, s3
	v_xor_b32_e32 v5, 4, v4
	v_xor_b32_e32 v6, 2, v4
	;; [unrolled: 1-line block ×3, first 2 shown]
	s_mul_i32 s19, s3, s3
	v_mul_lo_u32 v0, s3, v1
	v_cmp_gt_i32_e32 vcc_lo, 32, v5
	v_mul_lo_u32 v11, s3, v3
	s_mov_b32 s7, 0
	s_mul_i32 s6, s6, s3
	v_cndmask_b32_e32 v5, v4, v5, vcc_lo
	v_cmp_gt_i32_e32 vcc_lo, 32, v6
	s_waitcnt lgkmcnt(0)
	s_add_u32 s24, s8, s0
	s_addc_u32 s25, s9, s1
	v_lshlrev_b32_e32 v12, 2, v5
	s_load_dword s23, s[24:25], 0x0
	s_clause 0x2
	s_load_dwordx2 s[8:9], s[4:5], 0x58
	s_load_dwordx2 s[20:21], s[4:5], 0x48
	s_load_dword s4, s[4:5], 0x0
	v_cndmask_b32_e32 v6, v4, v6, vcc_lo
	v_cmp_gt_i32_e32 vcc_lo, 32, v7
	v_lshlrev_b32_e32 v13, 2, v6
	v_cndmask_b32_e32 v7, v4, v7, vcc_lo
	v_mov_b32_e32 v4, v2
	v_lshlrev_b32_e32 v14, 2, v7
	s_waitcnt lgkmcnt(0)
	s_sub_i32 s22, s23, s2
	s_add_u32 s5, s24, 4
	s_addc_u32 s24, s25, 0
	s_add_u32 s0, s10, s0
	s_addc_u32 s1, s11, s1
	s_cmp_eq_u64 s[10:11], 0
	s_mul_i32 s25, s22, s17
	s_cselect_b32 s1, s24, s1
	s_cselect_b32 s0, s5, s0
	v_cmp_eq_f32_e64 s10, s18, 0
	s_load_dword s5, s[0:1], 0x0
	v_cmp_gt_u32_e64 s0, s3, v3
	v_cmp_eq_u32_e64 s1, 7, v3
	s_waitcnt lgkmcnt(0)
	s_sub_i32 s11, s5, s2
	s_cmp_lt_i32 s23, s5
	s_mul_hi_u32 s5, s22, s19
	s_cselect_b32 s23, -1, 0
	s_cmp_lg_u32 s4, 0
	s_cselect_b32 s24, -1, 0
	s_ashr_i32 s4, s22, 31
	s_add_i32 s5, s5, s25
	s_mul_i32 s4, s4, s19
	s_mul_i32 s25, s22, s19
	s_add_i32 s26, s5, s4
	s_lshl_b32 s27, s3, 3
	s_branch .LBB54_10
.LBB54_9:                               ;   in Loop: Header=BB54_10 Depth=1
	s_or_b32 exec_lo, exec_lo, s4
	v_add_nc_u32_e32 v1, 8, v1
	v_add_nc_u32_e32 v0, s27, v0
	v_cmp_le_i32_e32 vcc_lo, s3, v1
	s_or_b32 s7, vcc_lo, s7
	s_andn2_b32 exec_lo, exec_lo, s7
	s_cbranch_execz .LBB54_26
.LBB54_10:                              ; =>This Loop Header: Depth=1
                                        ;     Child Loop BB54_14 Depth 2
                                        ;       Child Loop BB54_17 Depth 3
	v_mov_b32_e32 v15, 0
	s_andn2_b32 vcc_lo, exec_lo, s23
	s_cbranch_vccnz .LBB54_21
; %bb.11:                               ;   in Loop: Header=BB54_10 Depth=1
	v_ashrrev_i32_e32 v5, 31, v0
	v_add_co_u32 v16, vcc_lo, s25, v0
	v_mov_b32_e32 v15, 0
	s_mov_b32 s4, s22
	v_add_co_ci_u32_e64 v17, null, s26, v5, vcc_lo
	s_branch .LBB54_14
.LBB54_12:                              ;   in Loop: Header=BB54_14 Depth=2
	s_inst_prefetch 0x2
	s_or_b32 exec_lo, exec_lo, s5
.LBB54_13:                              ;   in Loop: Header=BB54_14 Depth=2
	s_or_b32 exec_lo, exec_lo, s28
	v_add_co_u32 v16, vcc_lo, v16, s19
	v_add_co_ci_u32_e64 v17, null, s17, v17, vcc_lo
	s_add_i32 s4, s4, 1
	s_cmp_ge_i32 s4, s11
	s_cbranch_scc1 .LBB54_21
.LBB54_14:                              ;   Parent Loop BB54_10 Depth=1
                                        ; =>  This Loop Header: Depth=2
                                        ;       Child Loop BB54_17 Depth 3
	s_and_saveexec_b32 s28, s0
	s_cbranch_execz .LBB54_13
; %bb.15:                               ;   in Loop: Header=BB54_14 Depth=2
	s_ashr_i32 s5, s4, 31
	s_waitcnt lgkmcnt(0)
	v_mad_u64_u32 v[5:6], null, s19, s4, v[1:2]
	s_lshl_b64 s[30:31], s[4:5], 2
	s_mul_i32 s5, s19, s5
	s_add_u32 s30, s12, s30
	s_addc_u32 s31, s13, s31
	v_mov_b32_e32 v8, v4
	s_load_dword s29, s[30:31], 0x0
	s_mul_i32 s30, s17, s4
	v_mov_b32_e32 v18, v11
	v_mov_b32_e32 v7, v3
	v_add3_u32 v6, s5, s30, v6
	s_waitcnt lgkmcnt(0)
	s_sub_i32 s5, s29, s2
	s_mul_i32 s29, s5, s3
	s_mov_b32 s5, 0
	s_inst_prefetch 0x1
	s_branch .LBB54_17
	.p2align	6
.LBB54_16:                              ;   in Loop: Header=BB54_17 Depth=3
	v_add_nc_u32_e32 v19, s29, v7
	v_lshlrev_b64 v[9:10], 1, v[9:10]
	v_add_nc_u32_e32 v18, s27, v18
	v_ashrrev_i32_e32 v20, 31, v19
	v_add_co_u32 v9, vcc_lo, s14, v9
	v_add_co_ci_u32_e64 v10, null, s15, v10, vcc_lo
	v_lshlrev_b64 v[19:20], 1, v[19:20]
	v_add_co_u32 v19, vcc_lo, s20, v19
	v_add_co_ci_u32_e64 v20, null, s21, v20, vcc_lo
	v_add_co_u32 v7, vcc_lo, v7, 8
	global_load_ushort v9, v[9:10], off
	global_load_ushort v10, v[19:20], off
	v_add_co_ci_u32_e64 v8, null, 0, v8, vcc_lo
	v_cmp_le_i32_e32 vcc_lo, s3, v7
	s_or_b32 s5, vcc_lo, s5
	s_waitcnt vmcnt(0)
	v_fma_mix_f32 v15, v9, v10, v15 op_sel_hi:[1,1,0]
	s_andn2_b32 exec_lo, exec_lo, s5
	s_cbranch_execz .LBB54_12
.LBB54_17:                              ;   Parent Loop BB54_10 Depth=1
                                        ;     Parent Loop BB54_14 Depth=2
                                        ; =>    This Inner Loop Header: Depth=3
	s_and_b32 vcc_lo, exec_lo, s24
	s_cbranch_vccz .LBB54_19
; %bb.18:                               ;   in Loop: Header=BB54_17 Depth=3
	v_ashrrev_i32_e32 v10, 31, v18
	v_add_co_u32 v9, vcc_lo, v5, v18
	v_add_co_ci_u32_e64 v10, null, v6, v10, vcc_lo
	s_cbranch_execnz .LBB54_16
	s_branch .LBB54_20
.LBB54_19:                              ;   in Loop: Header=BB54_17 Depth=3
                                        ; implicit-def: $vgpr9_vgpr10
.LBB54_20:                              ;   in Loop: Header=BB54_17 Depth=3
	v_add_co_u32 v9, vcc_lo, v16, v7
	v_add_co_ci_u32_e64 v10, null, v17, v8, vcc_lo
	s_branch .LBB54_16
.LBB54_21:                              ;   in Loop: Header=BB54_10 Depth=1
	ds_bpermute_b32 v5, v12, v15
	s_waitcnt lgkmcnt(0)
	v_add_f32_e32 v5, v15, v5
	ds_bpermute_b32 v6, v13, v5
	s_waitcnt lgkmcnt(0)
	v_add_f32_e32 v5, v5, v6
	ds_bpermute_b32 v6, v14, v5
	s_and_saveexec_b32 s4, s1
	s_cbranch_execz .LBB54_9
; %bb.22:                               ;   in Loop: Header=BB54_10 Depth=1
	s_waitcnt lgkmcnt(0)
	v_add_f32_e32 v6, v5, v6
	v_add_nc_u32_e32 v5, s6, v1
	s_and_b32 vcc_lo, exec_lo, s10
	v_mul_f32_e32 v7, s16, v6
	v_ashrrev_i32_e32 v6, 31, v5
	s_cbranch_vccz .LBB54_24
; %bb.23:                               ;   in Loop: Header=BB54_10 Depth=1
	v_lshlrev_b64 v[8:9], 2, v[5:6]
	v_add_co_u32 v8, vcc_lo, s8, v8
	v_add_co_ci_u32_e64 v9, null, s9, v9, vcc_lo
	global_store_dword v[8:9], v7, off
	s_cbranch_execnz .LBB54_9
	s_branch .LBB54_25
.LBB54_24:                              ;   in Loop: Header=BB54_10 Depth=1
.LBB54_25:                              ;   in Loop: Header=BB54_10 Depth=1
	v_lshlrev_b64 v[5:6], 2, v[5:6]
	v_add_co_u32 v5, vcc_lo, s8, v5
	v_add_co_ci_u32_e64 v6, null, s9, v6, vcc_lo
	global_load_dword v8, v[5:6], off
	s_waitcnt vmcnt(0)
	v_fmac_f32_e32 v7, s18, v8
	global_store_dword v[5:6], v7, off
	s_branch .LBB54_9
.LBB54_26:
	s_endpgm
	.section	.rodata,"a",@progbits
	.p2align	6, 0x0
	.amdhsa_kernel _ZN9rocsparseL22bsrxmvn_general_kernelILj64ELj8EfiiDF16_DF16_fEEv20rocsparse_direction_NS_24const_host_device_scalarIT1_EET3_PKS5_PKT2_SA_S7_PKT4_S5_PKT5_S4_PT6_21rocsparse_index_base_b
		.amdhsa_group_segment_fixed_size 0
		.amdhsa_private_segment_fixed_size 0
		.amdhsa_kernarg_size 104
		.amdhsa_user_sgpr_count 6
		.amdhsa_user_sgpr_private_segment_buffer 1
		.amdhsa_user_sgpr_dispatch_ptr 0
		.amdhsa_user_sgpr_queue_ptr 0
		.amdhsa_user_sgpr_kernarg_segment_ptr 1
		.amdhsa_user_sgpr_dispatch_id 0
		.amdhsa_user_sgpr_flat_scratch_init 0
		.amdhsa_user_sgpr_private_segment_size 0
		.amdhsa_wavefront_size32 1
		.amdhsa_uses_dynamic_stack 0
		.amdhsa_system_sgpr_private_segment_wavefront_offset 0
		.amdhsa_system_sgpr_workgroup_id_x 1
		.amdhsa_system_sgpr_workgroup_id_y 0
		.amdhsa_system_sgpr_workgroup_id_z 0
		.amdhsa_system_sgpr_workgroup_info 0
		.amdhsa_system_vgpr_workitem_id 0
		.amdhsa_next_free_vgpr 21
		.amdhsa_next_free_sgpr 32
		.amdhsa_reserve_vcc 1
		.amdhsa_reserve_flat_scratch 0
		.amdhsa_float_round_mode_32 0
		.amdhsa_float_round_mode_16_64 0
		.amdhsa_float_denorm_mode_32 3
		.amdhsa_float_denorm_mode_16_64 3
		.amdhsa_dx10_clamp 1
		.amdhsa_ieee_mode 1
		.amdhsa_fp16_overflow 0
		.amdhsa_workgroup_processor_mode 1
		.amdhsa_memory_ordered 1
		.amdhsa_forward_progress 1
		.amdhsa_shared_vgpr_count 0
		.amdhsa_exception_fp_ieee_invalid_op 0
		.amdhsa_exception_fp_denorm_src 0
		.amdhsa_exception_fp_ieee_div_zero 0
		.amdhsa_exception_fp_ieee_overflow 0
		.amdhsa_exception_fp_ieee_underflow 0
		.amdhsa_exception_fp_ieee_inexact 0
		.amdhsa_exception_int_div_zero 0
	.end_amdhsa_kernel
	.section	.text._ZN9rocsparseL22bsrxmvn_general_kernelILj64ELj8EfiiDF16_DF16_fEEv20rocsparse_direction_NS_24const_host_device_scalarIT1_EET3_PKS5_PKT2_SA_S7_PKT4_S5_PKT5_S4_PT6_21rocsparse_index_base_b,"axG",@progbits,_ZN9rocsparseL22bsrxmvn_general_kernelILj64ELj8EfiiDF16_DF16_fEEv20rocsparse_direction_NS_24const_host_device_scalarIT1_EET3_PKS5_PKT2_SA_S7_PKT4_S5_PKT5_S4_PT6_21rocsparse_index_base_b,comdat
.Lfunc_end54:
	.size	_ZN9rocsparseL22bsrxmvn_general_kernelILj64ELj8EfiiDF16_DF16_fEEv20rocsparse_direction_NS_24const_host_device_scalarIT1_EET3_PKS5_PKT2_SA_S7_PKT4_S5_PKT5_S4_PT6_21rocsparse_index_base_b, .Lfunc_end54-_ZN9rocsparseL22bsrxmvn_general_kernelILj64ELj8EfiiDF16_DF16_fEEv20rocsparse_direction_NS_24const_host_device_scalarIT1_EET3_PKS5_PKT2_SA_S7_PKT4_S5_PKT5_S4_PT6_21rocsparse_index_base_b
                                        ; -- End function
	.set _ZN9rocsparseL22bsrxmvn_general_kernelILj64ELj8EfiiDF16_DF16_fEEv20rocsparse_direction_NS_24const_host_device_scalarIT1_EET3_PKS5_PKT2_SA_S7_PKT4_S5_PKT5_S4_PT6_21rocsparse_index_base_b.num_vgpr, 21
	.set _ZN9rocsparseL22bsrxmvn_general_kernelILj64ELj8EfiiDF16_DF16_fEEv20rocsparse_direction_NS_24const_host_device_scalarIT1_EET3_PKS5_PKT2_SA_S7_PKT4_S5_PKT5_S4_PT6_21rocsparse_index_base_b.num_agpr, 0
	.set _ZN9rocsparseL22bsrxmvn_general_kernelILj64ELj8EfiiDF16_DF16_fEEv20rocsparse_direction_NS_24const_host_device_scalarIT1_EET3_PKS5_PKT2_SA_S7_PKT4_S5_PKT5_S4_PT6_21rocsparse_index_base_b.numbered_sgpr, 32
	.set _ZN9rocsparseL22bsrxmvn_general_kernelILj64ELj8EfiiDF16_DF16_fEEv20rocsparse_direction_NS_24const_host_device_scalarIT1_EET3_PKS5_PKT2_SA_S7_PKT4_S5_PKT5_S4_PT6_21rocsparse_index_base_b.num_named_barrier, 0
	.set _ZN9rocsparseL22bsrxmvn_general_kernelILj64ELj8EfiiDF16_DF16_fEEv20rocsparse_direction_NS_24const_host_device_scalarIT1_EET3_PKS5_PKT2_SA_S7_PKT4_S5_PKT5_S4_PT6_21rocsparse_index_base_b.private_seg_size, 0
	.set _ZN9rocsparseL22bsrxmvn_general_kernelILj64ELj8EfiiDF16_DF16_fEEv20rocsparse_direction_NS_24const_host_device_scalarIT1_EET3_PKS5_PKT2_SA_S7_PKT4_S5_PKT5_S4_PT6_21rocsparse_index_base_b.uses_vcc, 1
	.set _ZN9rocsparseL22bsrxmvn_general_kernelILj64ELj8EfiiDF16_DF16_fEEv20rocsparse_direction_NS_24const_host_device_scalarIT1_EET3_PKS5_PKT2_SA_S7_PKT4_S5_PKT5_S4_PT6_21rocsparse_index_base_b.uses_flat_scratch, 0
	.set _ZN9rocsparseL22bsrxmvn_general_kernelILj64ELj8EfiiDF16_DF16_fEEv20rocsparse_direction_NS_24const_host_device_scalarIT1_EET3_PKS5_PKT2_SA_S7_PKT4_S5_PKT5_S4_PT6_21rocsparse_index_base_b.has_dyn_sized_stack, 0
	.set _ZN9rocsparseL22bsrxmvn_general_kernelILj64ELj8EfiiDF16_DF16_fEEv20rocsparse_direction_NS_24const_host_device_scalarIT1_EET3_PKS5_PKT2_SA_S7_PKT4_S5_PKT5_S4_PT6_21rocsparse_index_base_b.has_recursion, 0
	.set _ZN9rocsparseL22bsrxmvn_general_kernelILj64ELj8EfiiDF16_DF16_fEEv20rocsparse_direction_NS_24const_host_device_scalarIT1_EET3_PKS5_PKT2_SA_S7_PKT4_S5_PKT5_S4_PT6_21rocsparse_index_base_b.has_indirect_call, 0
	.section	.AMDGPU.csdata,"",@progbits
; Kernel info:
; codeLenInByte = 1052
; TotalNumSgprs: 34
; NumVgprs: 21
; ScratchSize: 0
; MemoryBound: 0
; FloatMode: 240
; IeeeMode: 1
; LDSByteSize: 0 bytes/workgroup (compile time only)
; SGPRBlocks: 0
; VGPRBlocks: 2
; NumSGPRsForWavesPerEU: 34
; NumVGPRsForWavesPerEU: 21
; Occupancy: 16
; WaveLimiterHint : 1
; COMPUTE_PGM_RSRC2:SCRATCH_EN: 0
; COMPUTE_PGM_RSRC2:USER_SGPR: 6
; COMPUTE_PGM_RSRC2:TRAP_HANDLER: 0
; COMPUTE_PGM_RSRC2:TGID_X_EN: 1
; COMPUTE_PGM_RSRC2:TGID_Y_EN: 0
; COMPUTE_PGM_RSRC2:TGID_Z_EN: 0
; COMPUTE_PGM_RSRC2:TIDIG_COMP_CNT: 0
	.section	.text._ZN9rocsparseL22bsrxmvn_general_kernelILj256ELj16EfiiDF16_DF16_fEEv20rocsparse_direction_NS_24const_host_device_scalarIT1_EET3_PKS5_PKT2_SA_S7_PKT4_S5_PKT5_S4_PT6_21rocsparse_index_base_b,"axG",@progbits,_ZN9rocsparseL22bsrxmvn_general_kernelILj256ELj16EfiiDF16_DF16_fEEv20rocsparse_direction_NS_24const_host_device_scalarIT1_EET3_PKS5_PKT2_SA_S7_PKT4_S5_PKT5_S4_PT6_21rocsparse_index_base_b,comdat
	.globl	_ZN9rocsparseL22bsrxmvn_general_kernelILj256ELj16EfiiDF16_DF16_fEEv20rocsparse_direction_NS_24const_host_device_scalarIT1_EET3_PKS5_PKT2_SA_S7_PKT4_S5_PKT5_S4_PT6_21rocsparse_index_base_b ; -- Begin function _ZN9rocsparseL22bsrxmvn_general_kernelILj256ELj16EfiiDF16_DF16_fEEv20rocsparse_direction_NS_24const_host_device_scalarIT1_EET3_PKS5_PKT2_SA_S7_PKT4_S5_PKT5_S4_PT6_21rocsparse_index_base_b
	.p2align	8
	.type	_ZN9rocsparseL22bsrxmvn_general_kernelILj256ELj16EfiiDF16_DF16_fEEv20rocsparse_direction_NS_24const_host_device_scalarIT1_EET3_PKS5_PKT2_SA_S7_PKT4_S5_PKT5_S4_PT6_21rocsparse_index_base_b,@function
_ZN9rocsparseL22bsrxmvn_general_kernelILj256ELj16EfiiDF16_DF16_fEEv20rocsparse_direction_NS_24const_host_device_scalarIT1_EET3_PKS5_PKT2_SA_S7_PKT4_S5_PKT5_S4_PT6_21rocsparse_index_base_b: ; @_ZN9rocsparseL22bsrxmvn_general_kernelILj256ELj16EfiiDF16_DF16_fEEv20rocsparse_direction_NS_24const_host_device_scalarIT1_EET3_PKS5_PKT2_SA_S7_PKT4_S5_PKT5_S4_PT6_21rocsparse_index_base_b
; %bb.0:
	s_clause 0x2
	s_load_dwordx2 s[2:3], s[4:5], 0x60
	s_load_dwordx2 s[16:17], s[4:5], 0x8
	;; [unrolled: 1-line block ×3, first 2 shown]
	s_waitcnt lgkmcnt(0)
	s_bitcmp1_b32 s3, 0
	s_cselect_b32 s0, -1, 0
	s_and_b32 vcc_lo, exec_lo, s0
	s_xor_b32 s0, s0, -1
	s_cbranch_vccnz .LBB55_2
; %bb.1:
	s_load_dword s16, s[16:17], 0x0
.LBB55_2:
	s_andn2_b32 vcc_lo, exec_lo, s0
	s_cbranch_vccnz .LBB55_4
; %bb.3:
	s_load_dword s18, s[18:19], 0x0
.LBB55_4:
	s_waitcnt lgkmcnt(0)
	v_cmp_neq_f32_e64 s0, s16, 0
	v_cmp_neq_f32_e64 s1, s18, 1.0
	s_or_b32 s0, s0, s1
	s_andn2_b32 vcc_lo, exec_lo, s0
	s_cbranch_vccnz .LBB55_26
; %bb.5:
	s_load_dwordx2 s[0:1], s[4:5], 0x18
	s_waitcnt lgkmcnt(0)
	s_cmp_eq_u64 s[0:1], 0
	s_cbranch_scc1 .LBB55_7
; %bb.6:
	s_ashr_i32 s7, s6, 31
	s_lshl_b64 s[6:7], s[6:7], 2
	s_add_u32 s0, s0, s6
	s_addc_u32 s1, s1, s7
	s_load_dword s0, s[0:1], 0x0
	s_waitcnt lgkmcnt(0)
	s_sub_i32 s6, s0, s2
.LBB55_7:
	s_load_dword s3, s[4:5], 0x40
	v_lshrrev_b32_e32 v1, 4, v0
	s_mov_b32 s0, exec_lo
	s_waitcnt lgkmcnt(0)
	v_cmpx_gt_i32_e64 s3, v1
	s_cbranch_execz .LBB55_26
; %bb.8:
	s_load_dwordx8 s[8:15], s[4:5], 0x20
	s_ashr_i32 s7, s6, 31
	v_mbcnt_lo_u32_b32 v5, -1, 0
	s_lshl_b64 s[0:1], s[6:7], 2
	s_load_dword s27, s[4:5], 0x0
	v_and_b32_e32 v3, 15, v0
	v_mov_b32_e32 v2, 0
	v_xor_b32_e32 v6, 8, v5
	v_xor_b32_e32 v7, 4, v5
	;; [unrolled: 1-line block ×4, first 2 shown]
	s_mul_hi_u32 s17, s3, s3
	v_cmp_gt_i32_e32 vcc_lo, 32, v6
	s_mul_i32 s19, s3, s3
	v_mul_lo_u32 v0, s3, v1
	v_mul_lo_u32 v11, s3, v3
	v_cmp_eq_f32_e64 s22, s18, 0
	v_cndmask_b32_e32 v6, v5, v6, vcc_lo
	v_cmp_gt_i32_e32 vcc_lo, 32, v7
	v_mov_b32_e32 v4, v2
	s_waitcnt lgkmcnt(0)
	s_add_u32 s24, s8, s0
	s_addc_u32 s25, s9, s1
	v_lshlrev_b32_e32 v12, 2, v6
	s_load_dword s26, s[24:25], 0x0
	s_clause 0x1
	s_load_dwordx2 s[8:9], s[4:5], 0x58
	s_load_dwordx2 s[20:21], s[4:5], 0x48
	v_cndmask_b32_e32 v7, v5, v7, vcc_lo
	v_cmp_gt_i32_e32 vcc_lo, 32, v8
	s_mov_b32 s7, 0
	s_mul_i32 s6, s6, s3
	v_lshlrev_b32_e32 v13, 2, v7
	v_cndmask_b32_e32 v8, v5, v8, vcc_lo
	v_cmp_gt_i32_e32 vcc_lo, 32, v9
	v_lshlrev_b32_e32 v14, 2, v8
	v_cndmask_b32_e32 v5, v5, v9, vcc_lo
	v_lshlrev_b32_e32 v15, 2, v5
	s_waitcnt lgkmcnt(0)
	s_sub_i32 s23, s26, s2
	s_add_u32 s4, s24, 4
	s_addc_u32 s5, s25, 0
	s_add_u32 s24, s10, s0
	s_addc_u32 s1, s11, s1
	s_cmp_eq_u64 s[10:11], 0
	v_cmp_gt_u32_e64 s0, s3, v3
	s_cselect_b32 s5, s5, s1
	s_cselect_b32 s4, s4, s24
	v_cmp_eq_u32_e64 s1, 15, v3
	s_load_dword s4, s[4:5], 0x0
	s_mul_i32 s5, s23, s17
	s_waitcnt lgkmcnt(0)
	s_sub_i32 s10, s4, s2
	s_cmp_lt_i32 s26, s4
	s_mul_hi_u32 s4, s23, s19
	s_cselect_b32 s11, -1, 0
	s_cmp_lg_u32 s27, 0
	s_cselect_b32 s24, -1, 0
	s_ashr_i32 s25, s23, 31
	s_add_i32 s4, s4, s5
	s_mul_i32 s5, s25, s19
	s_mul_i32 s25, s23, s19
	s_add_i32 s26, s4, s5
	s_lshl_b32 s27, s3, 4
	s_branch .LBB55_10
.LBB55_9:                               ;   in Loop: Header=BB55_10 Depth=1
	s_or_b32 exec_lo, exec_lo, s4
	v_add_nc_u32_e32 v1, 16, v1
	v_add_nc_u32_e32 v0, s27, v0
	v_cmp_le_i32_e32 vcc_lo, s3, v1
	s_or_b32 s7, vcc_lo, s7
	s_andn2_b32 exec_lo, exec_lo, s7
	s_cbranch_execz .LBB55_26
.LBB55_10:                              ; =>This Loop Header: Depth=1
                                        ;     Child Loop BB55_14 Depth 2
                                        ;       Child Loop BB55_17 Depth 3
	v_mov_b32_e32 v16, 0
	s_andn2_b32 vcc_lo, exec_lo, s11
	s_cbranch_vccnz .LBB55_21
; %bb.11:                               ;   in Loop: Header=BB55_10 Depth=1
	v_ashrrev_i32_e32 v5, 31, v0
	v_add_co_u32 v17, vcc_lo, s25, v0
	v_mov_b32_e32 v16, 0
	s_mov_b32 s4, s23
	v_add_co_ci_u32_e64 v18, null, s26, v5, vcc_lo
	s_branch .LBB55_14
.LBB55_12:                              ;   in Loop: Header=BB55_14 Depth=2
	s_inst_prefetch 0x2
	s_or_b32 exec_lo, exec_lo, s5
.LBB55_13:                              ;   in Loop: Header=BB55_14 Depth=2
	s_or_b32 exec_lo, exec_lo, s28
	v_add_co_u32 v17, vcc_lo, v17, s19
	v_add_co_ci_u32_e64 v18, null, s17, v18, vcc_lo
	s_add_i32 s4, s4, 1
	s_cmp_ge_i32 s4, s10
	s_cbranch_scc1 .LBB55_21
.LBB55_14:                              ;   Parent Loop BB55_10 Depth=1
                                        ; =>  This Loop Header: Depth=2
                                        ;       Child Loop BB55_17 Depth 3
	s_and_saveexec_b32 s28, s0
	s_cbranch_execz .LBB55_13
; %bb.15:                               ;   in Loop: Header=BB55_14 Depth=2
	s_ashr_i32 s5, s4, 31
	s_waitcnt lgkmcnt(0)
	v_mad_u64_u32 v[5:6], null, s19, s4, v[1:2]
	s_lshl_b64 s[30:31], s[4:5], 2
	s_mul_i32 s5, s19, s5
	s_add_u32 s30, s12, s30
	s_addc_u32 s31, s13, s31
	v_mov_b32_e32 v8, v4
	s_load_dword s29, s[30:31], 0x0
	s_mul_i32 s30, s17, s4
	v_mov_b32_e32 v19, v11
	v_mov_b32_e32 v7, v3
	v_add3_u32 v6, s5, s30, v6
	s_waitcnt lgkmcnt(0)
	s_sub_i32 s5, s29, s2
	s_mul_i32 s29, s5, s3
	s_mov_b32 s5, 0
	s_inst_prefetch 0x1
	s_branch .LBB55_17
	.p2align	6
.LBB55_16:                              ;   in Loop: Header=BB55_17 Depth=3
	v_add_nc_u32_e32 v20, s29, v7
	v_lshlrev_b64 v[9:10], 1, v[9:10]
	v_add_nc_u32_e32 v19, s27, v19
	v_ashrrev_i32_e32 v21, 31, v20
	v_add_co_u32 v9, vcc_lo, s14, v9
	v_add_co_ci_u32_e64 v10, null, s15, v10, vcc_lo
	v_lshlrev_b64 v[20:21], 1, v[20:21]
	v_add_co_u32 v20, vcc_lo, s20, v20
	v_add_co_ci_u32_e64 v21, null, s21, v21, vcc_lo
	v_add_co_u32 v7, vcc_lo, v7, 16
	global_load_ushort v9, v[9:10], off
	global_load_ushort v10, v[20:21], off
	v_add_co_ci_u32_e64 v8, null, 0, v8, vcc_lo
	v_cmp_le_i32_e32 vcc_lo, s3, v7
	s_or_b32 s5, vcc_lo, s5
	s_waitcnt vmcnt(0)
	v_fma_mix_f32 v16, v9, v10, v16 op_sel_hi:[1,1,0]
	s_andn2_b32 exec_lo, exec_lo, s5
	s_cbranch_execz .LBB55_12
.LBB55_17:                              ;   Parent Loop BB55_10 Depth=1
                                        ;     Parent Loop BB55_14 Depth=2
                                        ; =>    This Inner Loop Header: Depth=3
	s_and_b32 vcc_lo, exec_lo, s24
	s_cbranch_vccz .LBB55_19
; %bb.18:                               ;   in Loop: Header=BB55_17 Depth=3
	v_ashrrev_i32_e32 v10, 31, v19
	v_add_co_u32 v9, vcc_lo, v5, v19
	v_add_co_ci_u32_e64 v10, null, v6, v10, vcc_lo
	s_cbranch_execnz .LBB55_16
	s_branch .LBB55_20
.LBB55_19:                              ;   in Loop: Header=BB55_17 Depth=3
                                        ; implicit-def: $vgpr9_vgpr10
.LBB55_20:                              ;   in Loop: Header=BB55_17 Depth=3
	v_add_co_u32 v9, vcc_lo, v17, v7
	v_add_co_ci_u32_e64 v10, null, v18, v8, vcc_lo
	s_branch .LBB55_16
.LBB55_21:                              ;   in Loop: Header=BB55_10 Depth=1
	ds_bpermute_b32 v5, v12, v16
	s_waitcnt lgkmcnt(0)
	v_add_f32_e32 v5, v16, v5
	ds_bpermute_b32 v6, v13, v5
	s_waitcnt lgkmcnt(0)
	v_add_f32_e32 v5, v5, v6
	;; [unrolled: 3-line block ×3, first 2 shown]
	ds_bpermute_b32 v6, v15, v5
	s_and_saveexec_b32 s4, s1
	s_cbranch_execz .LBB55_9
; %bb.22:                               ;   in Loop: Header=BB55_10 Depth=1
	s_waitcnt lgkmcnt(0)
	v_add_f32_e32 v6, v5, v6
	v_add_nc_u32_e32 v5, s6, v1
	s_and_b32 vcc_lo, exec_lo, s22
	v_mul_f32_e32 v7, s16, v6
	v_ashrrev_i32_e32 v6, 31, v5
	s_cbranch_vccz .LBB55_24
; %bb.23:                               ;   in Loop: Header=BB55_10 Depth=1
	v_lshlrev_b64 v[8:9], 2, v[5:6]
	v_add_co_u32 v8, vcc_lo, s8, v8
	v_add_co_ci_u32_e64 v9, null, s9, v9, vcc_lo
	global_store_dword v[8:9], v7, off
	s_cbranch_execnz .LBB55_9
	s_branch .LBB55_25
.LBB55_24:                              ;   in Loop: Header=BB55_10 Depth=1
.LBB55_25:                              ;   in Loop: Header=BB55_10 Depth=1
	v_lshlrev_b64 v[5:6], 2, v[5:6]
	v_add_co_u32 v5, vcc_lo, s8, v5
	v_add_co_ci_u32_e64 v6, null, s9, v6, vcc_lo
	global_load_dword v8, v[5:6], off
	s_waitcnt vmcnt(0)
	v_fmac_f32_e32 v7, s18, v8
	global_store_dword v[5:6], v7, off
	s_branch .LBB55_9
.LBB55_26:
	s_endpgm
	.section	.rodata,"a",@progbits
	.p2align	6, 0x0
	.amdhsa_kernel _ZN9rocsparseL22bsrxmvn_general_kernelILj256ELj16EfiiDF16_DF16_fEEv20rocsparse_direction_NS_24const_host_device_scalarIT1_EET3_PKS5_PKT2_SA_S7_PKT4_S5_PKT5_S4_PT6_21rocsparse_index_base_b
		.amdhsa_group_segment_fixed_size 0
		.amdhsa_private_segment_fixed_size 0
		.amdhsa_kernarg_size 104
		.amdhsa_user_sgpr_count 6
		.amdhsa_user_sgpr_private_segment_buffer 1
		.amdhsa_user_sgpr_dispatch_ptr 0
		.amdhsa_user_sgpr_queue_ptr 0
		.amdhsa_user_sgpr_kernarg_segment_ptr 1
		.amdhsa_user_sgpr_dispatch_id 0
		.amdhsa_user_sgpr_flat_scratch_init 0
		.amdhsa_user_sgpr_private_segment_size 0
		.amdhsa_wavefront_size32 1
		.amdhsa_uses_dynamic_stack 0
		.amdhsa_system_sgpr_private_segment_wavefront_offset 0
		.amdhsa_system_sgpr_workgroup_id_x 1
		.amdhsa_system_sgpr_workgroup_id_y 0
		.amdhsa_system_sgpr_workgroup_id_z 0
		.amdhsa_system_sgpr_workgroup_info 0
		.amdhsa_system_vgpr_workitem_id 0
		.amdhsa_next_free_vgpr 22
		.amdhsa_next_free_sgpr 32
		.amdhsa_reserve_vcc 1
		.amdhsa_reserve_flat_scratch 0
		.amdhsa_float_round_mode_32 0
		.amdhsa_float_round_mode_16_64 0
		.amdhsa_float_denorm_mode_32 3
		.amdhsa_float_denorm_mode_16_64 3
		.amdhsa_dx10_clamp 1
		.amdhsa_ieee_mode 1
		.amdhsa_fp16_overflow 0
		.amdhsa_workgroup_processor_mode 1
		.amdhsa_memory_ordered 1
		.amdhsa_forward_progress 1
		.amdhsa_shared_vgpr_count 0
		.amdhsa_exception_fp_ieee_invalid_op 0
		.amdhsa_exception_fp_denorm_src 0
		.amdhsa_exception_fp_ieee_div_zero 0
		.amdhsa_exception_fp_ieee_overflow 0
		.amdhsa_exception_fp_ieee_underflow 0
		.amdhsa_exception_fp_ieee_inexact 0
		.amdhsa_exception_int_div_zero 0
	.end_amdhsa_kernel
	.section	.text._ZN9rocsparseL22bsrxmvn_general_kernelILj256ELj16EfiiDF16_DF16_fEEv20rocsparse_direction_NS_24const_host_device_scalarIT1_EET3_PKS5_PKT2_SA_S7_PKT4_S5_PKT5_S4_PT6_21rocsparse_index_base_b,"axG",@progbits,_ZN9rocsparseL22bsrxmvn_general_kernelILj256ELj16EfiiDF16_DF16_fEEv20rocsparse_direction_NS_24const_host_device_scalarIT1_EET3_PKS5_PKT2_SA_S7_PKT4_S5_PKT5_S4_PT6_21rocsparse_index_base_b,comdat
.Lfunc_end55:
	.size	_ZN9rocsparseL22bsrxmvn_general_kernelILj256ELj16EfiiDF16_DF16_fEEv20rocsparse_direction_NS_24const_host_device_scalarIT1_EET3_PKS5_PKT2_SA_S7_PKT4_S5_PKT5_S4_PT6_21rocsparse_index_base_b, .Lfunc_end55-_ZN9rocsparseL22bsrxmvn_general_kernelILj256ELj16EfiiDF16_DF16_fEEv20rocsparse_direction_NS_24const_host_device_scalarIT1_EET3_PKS5_PKT2_SA_S7_PKT4_S5_PKT5_S4_PT6_21rocsparse_index_base_b
                                        ; -- End function
	.set _ZN9rocsparseL22bsrxmvn_general_kernelILj256ELj16EfiiDF16_DF16_fEEv20rocsparse_direction_NS_24const_host_device_scalarIT1_EET3_PKS5_PKT2_SA_S7_PKT4_S5_PKT5_S4_PT6_21rocsparse_index_base_b.num_vgpr, 22
	.set _ZN9rocsparseL22bsrxmvn_general_kernelILj256ELj16EfiiDF16_DF16_fEEv20rocsparse_direction_NS_24const_host_device_scalarIT1_EET3_PKS5_PKT2_SA_S7_PKT4_S5_PKT5_S4_PT6_21rocsparse_index_base_b.num_agpr, 0
	.set _ZN9rocsparseL22bsrxmvn_general_kernelILj256ELj16EfiiDF16_DF16_fEEv20rocsparse_direction_NS_24const_host_device_scalarIT1_EET3_PKS5_PKT2_SA_S7_PKT4_S5_PKT5_S4_PT6_21rocsparse_index_base_b.numbered_sgpr, 32
	.set _ZN9rocsparseL22bsrxmvn_general_kernelILj256ELj16EfiiDF16_DF16_fEEv20rocsparse_direction_NS_24const_host_device_scalarIT1_EET3_PKS5_PKT2_SA_S7_PKT4_S5_PKT5_S4_PT6_21rocsparse_index_base_b.num_named_barrier, 0
	.set _ZN9rocsparseL22bsrxmvn_general_kernelILj256ELj16EfiiDF16_DF16_fEEv20rocsparse_direction_NS_24const_host_device_scalarIT1_EET3_PKS5_PKT2_SA_S7_PKT4_S5_PKT5_S4_PT6_21rocsparse_index_base_b.private_seg_size, 0
	.set _ZN9rocsparseL22bsrxmvn_general_kernelILj256ELj16EfiiDF16_DF16_fEEv20rocsparse_direction_NS_24const_host_device_scalarIT1_EET3_PKS5_PKT2_SA_S7_PKT4_S5_PKT5_S4_PT6_21rocsparse_index_base_b.uses_vcc, 1
	.set _ZN9rocsparseL22bsrxmvn_general_kernelILj256ELj16EfiiDF16_DF16_fEEv20rocsparse_direction_NS_24const_host_device_scalarIT1_EET3_PKS5_PKT2_SA_S7_PKT4_S5_PKT5_S4_PT6_21rocsparse_index_base_b.uses_flat_scratch, 0
	.set _ZN9rocsparseL22bsrxmvn_general_kernelILj256ELj16EfiiDF16_DF16_fEEv20rocsparse_direction_NS_24const_host_device_scalarIT1_EET3_PKS5_PKT2_SA_S7_PKT4_S5_PKT5_S4_PT6_21rocsparse_index_base_b.has_dyn_sized_stack, 0
	.set _ZN9rocsparseL22bsrxmvn_general_kernelILj256ELj16EfiiDF16_DF16_fEEv20rocsparse_direction_NS_24const_host_device_scalarIT1_EET3_PKS5_PKT2_SA_S7_PKT4_S5_PKT5_S4_PT6_21rocsparse_index_base_b.has_recursion, 0
	.set _ZN9rocsparseL22bsrxmvn_general_kernelILj256ELj16EfiiDF16_DF16_fEEv20rocsparse_direction_NS_24const_host_device_scalarIT1_EET3_PKS5_PKT2_SA_S7_PKT4_S5_PKT5_S4_PT6_21rocsparse_index_base_b.has_indirect_call, 0
	.section	.AMDGPU.csdata,"",@progbits
; Kernel info:
; codeLenInByte = 1132
; TotalNumSgprs: 34
; NumVgprs: 22
; ScratchSize: 0
; MemoryBound: 0
; FloatMode: 240
; IeeeMode: 1
; LDSByteSize: 0 bytes/workgroup (compile time only)
; SGPRBlocks: 0
; VGPRBlocks: 2
; NumSGPRsForWavesPerEU: 34
; NumVGPRsForWavesPerEU: 22
; Occupancy: 16
; WaveLimiterHint : 1
; COMPUTE_PGM_RSRC2:SCRATCH_EN: 0
; COMPUTE_PGM_RSRC2:USER_SGPR: 6
; COMPUTE_PGM_RSRC2:TRAP_HANDLER: 0
; COMPUTE_PGM_RSRC2:TGID_X_EN: 1
; COMPUTE_PGM_RSRC2:TGID_Y_EN: 0
; COMPUTE_PGM_RSRC2:TGID_Z_EN: 0
; COMPUTE_PGM_RSRC2:TIDIG_COMP_CNT: 0
	.section	.text._ZN9rocsparseL22bsrxmvn_general_kernelILj1024ELj32EfiiDF16_DF16_fEEv20rocsparse_direction_NS_24const_host_device_scalarIT1_EET3_PKS5_PKT2_SA_S7_PKT4_S5_PKT5_S4_PT6_21rocsparse_index_base_b,"axG",@progbits,_ZN9rocsparseL22bsrxmvn_general_kernelILj1024ELj32EfiiDF16_DF16_fEEv20rocsparse_direction_NS_24const_host_device_scalarIT1_EET3_PKS5_PKT2_SA_S7_PKT4_S5_PKT5_S4_PT6_21rocsparse_index_base_b,comdat
	.globl	_ZN9rocsparseL22bsrxmvn_general_kernelILj1024ELj32EfiiDF16_DF16_fEEv20rocsparse_direction_NS_24const_host_device_scalarIT1_EET3_PKS5_PKT2_SA_S7_PKT4_S5_PKT5_S4_PT6_21rocsparse_index_base_b ; -- Begin function _ZN9rocsparseL22bsrxmvn_general_kernelILj1024ELj32EfiiDF16_DF16_fEEv20rocsparse_direction_NS_24const_host_device_scalarIT1_EET3_PKS5_PKT2_SA_S7_PKT4_S5_PKT5_S4_PT6_21rocsparse_index_base_b
	.p2align	8
	.type	_ZN9rocsparseL22bsrxmvn_general_kernelILj1024ELj32EfiiDF16_DF16_fEEv20rocsparse_direction_NS_24const_host_device_scalarIT1_EET3_PKS5_PKT2_SA_S7_PKT4_S5_PKT5_S4_PT6_21rocsparse_index_base_b,@function
_ZN9rocsparseL22bsrxmvn_general_kernelILj1024ELj32EfiiDF16_DF16_fEEv20rocsparse_direction_NS_24const_host_device_scalarIT1_EET3_PKS5_PKT2_SA_S7_PKT4_S5_PKT5_S4_PT6_21rocsparse_index_base_b: ; @_ZN9rocsparseL22bsrxmvn_general_kernelILj1024ELj32EfiiDF16_DF16_fEEv20rocsparse_direction_NS_24const_host_device_scalarIT1_EET3_PKS5_PKT2_SA_S7_PKT4_S5_PKT5_S4_PT6_21rocsparse_index_base_b
; %bb.0:
	s_clause 0x2
	s_load_dwordx2 s[2:3], s[4:5], 0x60
	s_load_dwordx2 s[16:17], s[4:5], 0x8
	;; [unrolled: 1-line block ×3, first 2 shown]
	s_waitcnt lgkmcnt(0)
	s_bitcmp1_b32 s3, 0
	s_cselect_b32 s0, -1, 0
	s_and_b32 vcc_lo, exec_lo, s0
	s_xor_b32 s0, s0, -1
	s_cbranch_vccnz .LBB56_2
; %bb.1:
	s_load_dword s16, s[16:17], 0x0
.LBB56_2:
	s_andn2_b32 vcc_lo, exec_lo, s0
	s_cbranch_vccnz .LBB56_4
; %bb.3:
	s_load_dword s18, s[18:19], 0x0
.LBB56_4:
	s_waitcnt lgkmcnt(0)
	v_cmp_neq_f32_e64 s0, s16, 0
	v_cmp_neq_f32_e64 s1, s18, 1.0
	s_or_b32 s0, s0, s1
	s_andn2_b32 vcc_lo, exec_lo, s0
	s_cbranch_vccnz .LBB56_26
; %bb.5:
	s_load_dwordx2 s[0:1], s[4:5], 0x18
	s_waitcnt lgkmcnt(0)
	s_cmp_eq_u64 s[0:1], 0
	s_cbranch_scc1 .LBB56_7
; %bb.6:
	s_ashr_i32 s7, s6, 31
	s_lshl_b64 s[6:7], s[6:7], 2
	s_add_u32 s0, s0, s6
	s_addc_u32 s1, s1, s7
	s_load_dword s0, s[0:1], 0x0
	s_waitcnt lgkmcnt(0)
	s_sub_i32 s6, s0, s2
.LBB56_7:
	s_load_dword s3, s[4:5], 0x40
	v_lshrrev_b32_e32 v1, 5, v0
	s_mov_b32 s0, exec_lo
	s_waitcnt lgkmcnt(0)
	v_cmpx_gt_i32_e64 s3, v1
	s_cbranch_execz .LBB56_26
; %bb.8:
	s_load_dwordx8 s[8:15], s[4:5], 0x20
	s_ashr_i32 s7, s6, 31
	v_mbcnt_lo_u32_b32 v5, -1, 0
	s_lshl_b64 s[24:25], s[6:7], 2
	s_load_dword s29, s[4:5], 0x0
	v_and_b32_e32 v3, 31, v0
	v_mov_b32_e32 v2, 0
	v_xor_b32_e32 v6, 16, v5
	v_xor_b32_e32 v7, 8, v5
	;; [unrolled: 1-line block ×5, first 2 shown]
	v_cmp_gt_i32_e32 vcc_lo, 32, v6
	s_mul_hi_u32 s17, s3, s3
	s_mul_i32 s19, s3, s3
	v_mul_lo_u32 v0, s3, v1
	v_mul_lo_u32 v11, s3, v3
	v_cndmask_b32_e32 v6, v5, v6, vcc_lo
	v_cmp_gt_i32_e32 vcc_lo, 32, v7
	v_cmp_eq_f32_e64 s22, s18, 0
	s_waitcnt lgkmcnt(0)
	s_add_u32 s26, s8, s24
	s_addc_u32 s27, s9, s25
	v_cmp_gt_u32_e64 s0, s3, v3
	s_load_dword s28, s[26:27], 0x0
	s_clause 0x1
	s_load_dwordx2 s[8:9], s[4:5], 0x58
	s_load_dwordx2 s[20:21], s[4:5], 0x48
	v_cndmask_b32_e32 v7, v5, v7, vcc_lo
	v_cmp_gt_i32_e32 vcc_lo, 32, v8
	v_mov_b32_e32 v4, v2
	v_lshlrev_b32_e32 v12, 2, v6
	s_mov_b32 s7, 0
	v_lshlrev_b32_e32 v13, 2, v7
	v_cndmask_b32_e32 v8, v5, v8, vcc_lo
	v_cmp_gt_i32_e32 vcc_lo, 32, v9
	s_mul_i32 s6, s6, s3
	v_lshlrev_b32_e32 v14, 2, v8
	v_cndmask_b32_e32 v9, v5, v9, vcc_lo
	v_cmp_gt_i32_e32 vcc_lo, 32, v10
	v_lshlrev_b32_e32 v15, 2, v9
	s_waitcnt lgkmcnt(0)
	s_sub_i32 s23, s28, s2
	s_add_u32 s1, s26, 4
	s_addc_u32 s4, s27, 0
	s_add_u32 s24, s10, s24
	s_addc_u32 s5, s11, s25
	s_cmp_eq_u64 s[10:11], 0
	v_cndmask_b32_e32 v5, v5, v10, vcc_lo
	s_cselect_b32 s5, s4, s5
	s_cselect_b32 s4, s1, s24
	v_cmp_eq_u32_e64 s1, 31, v3
	s_load_dword s4, s[4:5], 0x0
	s_mul_i32 s5, s23, s17
	v_lshlrev_b32_e32 v16, 2, v5
	s_waitcnt lgkmcnt(0)
	s_sub_i32 s10, s4, s2
	s_cmp_lt_i32 s28, s4
	s_mul_hi_u32 s4, s23, s19
	s_cselect_b32 s11, -1, 0
	s_cmp_lg_u32 s29, 0
	s_cselect_b32 s24, -1, 0
	s_ashr_i32 s25, s23, 31
	s_add_i32 s4, s4, s5
	s_mul_i32 s5, s25, s19
	s_mul_i32 s25, s23, s19
	s_add_i32 s26, s4, s5
	s_lshl_b32 s27, s3, 5
	s_branch .LBB56_10
.LBB56_9:                               ;   in Loop: Header=BB56_10 Depth=1
	s_or_b32 exec_lo, exec_lo, s4
	v_add_nc_u32_e32 v1, 32, v1
	v_add_nc_u32_e32 v0, s27, v0
	v_cmp_le_i32_e32 vcc_lo, s3, v1
	s_or_b32 s7, vcc_lo, s7
	s_andn2_b32 exec_lo, exec_lo, s7
	s_cbranch_execz .LBB56_26
.LBB56_10:                              ; =>This Loop Header: Depth=1
                                        ;     Child Loop BB56_14 Depth 2
                                        ;       Child Loop BB56_17 Depth 3
	v_mov_b32_e32 v17, 0
	s_andn2_b32 vcc_lo, exec_lo, s11
	s_cbranch_vccnz .LBB56_21
; %bb.11:                               ;   in Loop: Header=BB56_10 Depth=1
	v_ashrrev_i32_e32 v5, 31, v0
	v_add_co_u32 v18, vcc_lo, s25, v0
	v_mov_b32_e32 v17, 0
	s_mov_b32 s4, s23
	v_add_co_ci_u32_e64 v19, null, s26, v5, vcc_lo
	s_branch .LBB56_14
.LBB56_12:                              ;   in Loop: Header=BB56_14 Depth=2
	s_inst_prefetch 0x2
	s_or_b32 exec_lo, exec_lo, s5
.LBB56_13:                              ;   in Loop: Header=BB56_14 Depth=2
	s_or_b32 exec_lo, exec_lo, s28
	v_add_co_u32 v18, vcc_lo, v18, s19
	v_add_co_ci_u32_e64 v19, null, s17, v19, vcc_lo
	s_add_i32 s4, s4, 1
	s_cmp_ge_i32 s4, s10
	s_cbranch_scc1 .LBB56_21
.LBB56_14:                              ;   Parent Loop BB56_10 Depth=1
                                        ; =>  This Loop Header: Depth=2
                                        ;       Child Loop BB56_17 Depth 3
	s_and_saveexec_b32 s28, s0
	s_cbranch_execz .LBB56_13
; %bb.15:                               ;   in Loop: Header=BB56_14 Depth=2
	s_ashr_i32 s5, s4, 31
	s_waitcnt lgkmcnt(0)
	v_mad_u64_u32 v[5:6], null, s19, s4, v[1:2]
	s_lshl_b64 s[30:31], s[4:5], 2
	s_mul_i32 s5, s19, s5
	s_add_u32 s30, s12, s30
	s_addc_u32 s31, s13, s31
	v_mov_b32_e32 v8, v4
	s_load_dword s29, s[30:31], 0x0
	s_mul_i32 s30, s17, s4
	v_mov_b32_e32 v20, v11
	v_mov_b32_e32 v7, v3
	v_add3_u32 v6, s5, s30, v6
	s_waitcnt lgkmcnt(0)
	s_sub_i32 s5, s29, s2
	s_mul_i32 s29, s5, s3
	s_mov_b32 s5, 0
	s_inst_prefetch 0x1
	s_branch .LBB56_17
	.p2align	6
.LBB56_16:                              ;   in Loop: Header=BB56_17 Depth=3
	v_add_nc_u32_e32 v21, s29, v7
	v_lshlrev_b64 v[9:10], 1, v[9:10]
	v_add_nc_u32_e32 v20, s27, v20
	v_ashrrev_i32_e32 v22, 31, v21
	v_add_co_u32 v9, vcc_lo, s14, v9
	v_add_co_ci_u32_e64 v10, null, s15, v10, vcc_lo
	v_lshlrev_b64 v[21:22], 1, v[21:22]
	v_add_co_u32 v21, vcc_lo, s20, v21
	v_add_co_ci_u32_e64 v22, null, s21, v22, vcc_lo
	v_add_co_u32 v7, vcc_lo, v7, 32
	global_load_ushort v9, v[9:10], off
	global_load_ushort v10, v[21:22], off
	v_add_co_ci_u32_e64 v8, null, 0, v8, vcc_lo
	v_cmp_le_i32_e32 vcc_lo, s3, v7
	s_or_b32 s5, vcc_lo, s5
	s_waitcnt vmcnt(0)
	v_fma_mix_f32 v17, v9, v10, v17 op_sel_hi:[1,1,0]
	s_andn2_b32 exec_lo, exec_lo, s5
	s_cbranch_execz .LBB56_12
.LBB56_17:                              ;   Parent Loop BB56_10 Depth=1
                                        ;     Parent Loop BB56_14 Depth=2
                                        ; =>    This Inner Loop Header: Depth=3
	s_and_b32 vcc_lo, exec_lo, s24
	s_cbranch_vccz .LBB56_19
; %bb.18:                               ;   in Loop: Header=BB56_17 Depth=3
	v_ashrrev_i32_e32 v10, 31, v20
	v_add_co_u32 v9, vcc_lo, v5, v20
	v_add_co_ci_u32_e64 v10, null, v6, v10, vcc_lo
	s_cbranch_execnz .LBB56_16
	s_branch .LBB56_20
.LBB56_19:                              ;   in Loop: Header=BB56_17 Depth=3
                                        ; implicit-def: $vgpr9_vgpr10
.LBB56_20:                              ;   in Loop: Header=BB56_17 Depth=3
	v_add_co_u32 v9, vcc_lo, v18, v7
	v_add_co_ci_u32_e64 v10, null, v19, v8, vcc_lo
	s_branch .LBB56_16
.LBB56_21:                              ;   in Loop: Header=BB56_10 Depth=1
	ds_bpermute_b32 v5, v12, v17
	s_waitcnt lgkmcnt(0)
	v_add_f32_e32 v5, v17, v5
	ds_bpermute_b32 v6, v13, v5
	s_waitcnt lgkmcnt(0)
	v_add_f32_e32 v5, v5, v6
	;; [unrolled: 3-line block ×4, first 2 shown]
	ds_bpermute_b32 v6, v16, v5
	s_and_saveexec_b32 s4, s1
	s_cbranch_execz .LBB56_9
; %bb.22:                               ;   in Loop: Header=BB56_10 Depth=1
	s_waitcnt lgkmcnt(0)
	v_add_f32_e32 v6, v5, v6
	v_add_nc_u32_e32 v5, s6, v1
	s_and_b32 vcc_lo, exec_lo, s22
	v_mul_f32_e32 v7, s16, v6
	v_ashrrev_i32_e32 v6, 31, v5
	s_cbranch_vccz .LBB56_24
; %bb.23:                               ;   in Loop: Header=BB56_10 Depth=1
	v_lshlrev_b64 v[8:9], 2, v[5:6]
	v_add_co_u32 v8, vcc_lo, s8, v8
	v_add_co_ci_u32_e64 v9, null, s9, v9, vcc_lo
	global_store_dword v[8:9], v7, off
	s_cbranch_execnz .LBB56_9
	s_branch .LBB56_25
.LBB56_24:                              ;   in Loop: Header=BB56_10 Depth=1
.LBB56_25:                              ;   in Loop: Header=BB56_10 Depth=1
	v_lshlrev_b64 v[5:6], 2, v[5:6]
	v_add_co_u32 v5, vcc_lo, s8, v5
	v_add_co_ci_u32_e64 v6, null, s9, v6, vcc_lo
	global_load_dword v8, v[5:6], off
	s_waitcnt vmcnt(0)
	v_fmac_f32_e32 v7, s18, v8
	global_store_dword v[5:6], v7, off
	s_branch .LBB56_9
.LBB56_26:
	s_endpgm
	.section	.rodata,"a",@progbits
	.p2align	6, 0x0
	.amdhsa_kernel _ZN9rocsparseL22bsrxmvn_general_kernelILj1024ELj32EfiiDF16_DF16_fEEv20rocsparse_direction_NS_24const_host_device_scalarIT1_EET3_PKS5_PKT2_SA_S7_PKT4_S5_PKT5_S4_PT6_21rocsparse_index_base_b
		.amdhsa_group_segment_fixed_size 0
		.amdhsa_private_segment_fixed_size 0
		.amdhsa_kernarg_size 104
		.amdhsa_user_sgpr_count 6
		.amdhsa_user_sgpr_private_segment_buffer 1
		.amdhsa_user_sgpr_dispatch_ptr 0
		.amdhsa_user_sgpr_queue_ptr 0
		.amdhsa_user_sgpr_kernarg_segment_ptr 1
		.amdhsa_user_sgpr_dispatch_id 0
		.amdhsa_user_sgpr_flat_scratch_init 0
		.amdhsa_user_sgpr_private_segment_size 0
		.amdhsa_wavefront_size32 1
		.amdhsa_uses_dynamic_stack 0
		.amdhsa_system_sgpr_private_segment_wavefront_offset 0
		.amdhsa_system_sgpr_workgroup_id_x 1
		.amdhsa_system_sgpr_workgroup_id_y 0
		.amdhsa_system_sgpr_workgroup_id_z 0
		.amdhsa_system_sgpr_workgroup_info 0
		.amdhsa_system_vgpr_workitem_id 0
		.amdhsa_next_free_vgpr 23
		.amdhsa_next_free_sgpr 32
		.amdhsa_reserve_vcc 1
		.amdhsa_reserve_flat_scratch 0
		.amdhsa_float_round_mode_32 0
		.amdhsa_float_round_mode_16_64 0
		.amdhsa_float_denorm_mode_32 3
		.amdhsa_float_denorm_mode_16_64 3
		.amdhsa_dx10_clamp 1
		.amdhsa_ieee_mode 1
		.amdhsa_fp16_overflow 0
		.amdhsa_workgroup_processor_mode 1
		.amdhsa_memory_ordered 1
		.amdhsa_forward_progress 1
		.amdhsa_shared_vgpr_count 0
		.amdhsa_exception_fp_ieee_invalid_op 0
		.amdhsa_exception_fp_denorm_src 0
		.amdhsa_exception_fp_ieee_div_zero 0
		.amdhsa_exception_fp_ieee_overflow 0
		.amdhsa_exception_fp_ieee_underflow 0
		.amdhsa_exception_fp_ieee_inexact 0
		.amdhsa_exception_int_div_zero 0
	.end_amdhsa_kernel
	.section	.text._ZN9rocsparseL22bsrxmvn_general_kernelILj1024ELj32EfiiDF16_DF16_fEEv20rocsparse_direction_NS_24const_host_device_scalarIT1_EET3_PKS5_PKT2_SA_S7_PKT4_S5_PKT5_S4_PT6_21rocsparse_index_base_b,"axG",@progbits,_ZN9rocsparseL22bsrxmvn_general_kernelILj1024ELj32EfiiDF16_DF16_fEEv20rocsparse_direction_NS_24const_host_device_scalarIT1_EET3_PKS5_PKT2_SA_S7_PKT4_S5_PKT5_S4_PT6_21rocsparse_index_base_b,comdat
.Lfunc_end56:
	.size	_ZN9rocsparseL22bsrxmvn_general_kernelILj1024ELj32EfiiDF16_DF16_fEEv20rocsparse_direction_NS_24const_host_device_scalarIT1_EET3_PKS5_PKT2_SA_S7_PKT4_S5_PKT5_S4_PT6_21rocsparse_index_base_b, .Lfunc_end56-_ZN9rocsparseL22bsrxmvn_general_kernelILj1024ELj32EfiiDF16_DF16_fEEv20rocsparse_direction_NS_24const_host_device_scalarIT1_EET3_PKS5_PKT2_SA_S7_PKT4_S5_PKT5_S4_PT6_21rocsparse_index_base_b
                                        ; -- End function
	.set _ZN9rocsparseL22bsrxmvn_general_kernelILj1024ELj32EfiiDF16_DF16_fEEv20rocsparse_direction_NS_24const_host_device_scalarIT1_EET3_PKS5_PKT2_SA_S7_PKT4_S5_PKT5_S4_PT6_21rocsparse_index_base_b.num_vgpr, 23
	.set _ZN9rocsparseL22bsrxmvn_general_kernelILj1024ELj32EfiiDF16_DF16_fEEv20rocsparse_direction_NS_24const_host_device_scalarIT1_EET3_PKS5_PKT2_SA_S7_PKT4_S5_PKT5_S4_PT6_21rocsparse_index_base_b.num_agpr, 0
	.set _ZN9rocsparseL22bsrxmvn_general_kernelILj1024ELj32EfiiDF16_DF16_fEEv20rocsparse_direction_NS_24const_host_device_scalarIT1_EET3_PKS5_PKT2_SA_S7_PKT4_S5_PKT5_S4_PT6_21rocsparse_index_base_b.numbered_sgpr, 32
	.set _ZN9rocsparseL22bsrxmvn_general_kernelILj1024ELj32EfiiDF16_DF16_fEEv20rocsparse_direction_NS_24const_host_device_scalarIT1_EET3_PKS5_PKT2_SA_S7_PKT4_S5_PKT5_S4_PT6_21rocsparse_index_base_b.num_named_barrier, 0
	.set _ZN9rocsparseL22bsrxmvn_general_kernelILj1024ELj32EfiiDF16_DF16_fEEv20rocsparse_direction_NS_24const_host_device_scalarIT1_EET3_PKS5_PKT2_SA_S7_PKT4_S5_PKT5_S4_PT6_21rocsparse_index_base_b.private_seg_size, 0
	.set _ZN9rocsparseL22bsrxmvn_general_kernelILj1024ELj32EfiiDF16_DF16_fEEv20rocsparse_direction_NS_24const_host_device_scalarIT1_EET3_PKS5_PKT2_SA_S7_PKT4_S5_PKT5_S4_PT6_21rocsparse_index_base_b.uses_vcc, 1
	.set _ZN9rocsparseL22bsrxmvn_general_kernelILj1024ELj32EfiiDF16_DF16_fEEv20rocsparse_direction_NS_24const_host_device_scalarIT1_EET3_PKS5_PKT2_SA_S7_PKT4_S5_PKT5_S4_PT6_21rocsparse_index_base_b.uses_flat_scratch, 0
	.set _ZN9rocsparseL22bsrxmvn_general_kernelILj1024ELj32EfiiDF16_DF16_fEEv20rocsparse_direction_NS_24const_host_device_scalarIT1_EET3_PKS5_PKT2_SA_S7_PKT4_S5_PKT5_S4_PT6_21rocsparse_index_base_b.has_dyn_sized_stack, 0
	.set _ZN9rocsparseL22bsrxmvn_general_kernelILj1024ELj32EfiiDF16_DF16_fEEv20rocsparse_direction_NS_24const_host_device_scalarIT1_EET3_PKS5_PKT2_SA_S7_PKT4_S5_PKT5_S4_PT6_21rocsparse_index_base_b.has_recursion, 0
	.set _ZN9rocsparseL22bsrxmvn_general_kernelILj1024ELj32EfiiDF16_DF16_fEEv20rocsparse_direction_NS_24const_host_device_scalarIT1_EET3_PKS5_PKT2_SA_S7_PKT4_S5_PKT5_S4_PT6_21rocsparse_index_base_b.has_indirect_call, 0
	.section	.AMDGPU.csdata,"",@progbits
; Kernel info:
; codeLenInByte = 1148
; TotalNumSgprs: 34
; NumVgprs: 23
; ScratchSize: 0
; MemoryBound: 0
; FloatMode: 240
; IeeeMode: 1
; LDSByteSize: 0 bytes/workgroup (compile time only)
; SGPRBlocks: 0
; VGPRBlocks: 2
; NumSGPRsForWavesPerEU: 34
; NumVGPRsForWavesPerEU: 23
; Occupancy: 16
; WaveLimiterHint : 1
; COMPUTE_PGM_RSRC2:SCRATCH_EN: 0
; COMPUTE_PGM_RSRC2:USER_SGPR: 6
; COMPUTE_PGM_RSRC2:TRAP_HANDLER: 0
; COMPUTE_PGM_RSRC2:TGID_X_EN: 1
; COMPUTE_PGM_RSRC2:TGID_Y_EN: 0
; COMPUTE_PGM_RSRC2:TGID_Z_EN: 0
; COMPUTE_PGM_RSRC2:TIDIG_COMP_CNT: 0
	.section	.text._ZN9rocsparseL22bsrxmvn_general_kernelILj64ELj8EfliDF16_DF16_fEEv20rocsparse_direction_NS_24const_host_device_scalarIT1_EET3_PKS5_PKT2_SA_S7_PKT4_S5_PKT5_S4_PT6_21rocsparse_index_base_b,"axG",@progbits,_ZN9rocsparseL22bsrxmvn_general_kernelILj64ELj8EfliDF16_DF16_fEEv20rocsparse_direction_NS_24const_host_device_scalarIT1_EET3_PKS5_PKT2_SA_S7_PKT4_S5_PKT5_S4_PT6_21rocsparse_index_base_b,comdat
	.globl	_ZN9rocsparseL22bsrxmvn_general_kernelILj64ELj8EfliDF16_DF16_fEEv20rocsparse_direction_NS_24const_host_device_scalarIT1_EET3_PKS5_PKT2_SA_S7_PKT4_S5_PKT5_S4_PT6_21rocsparse_index_base_b ; -- Begin function _ZN9rocsparseL22bsrxmvn_general_kernelILj64ELj8EfliDF16_DF16_fEEv20rocsparse_direction_NS_24const_host_device_scalarIT1_EET3_PKS5_PKT2_SA_S7_PKT4_S5_PKT5_S4_PT6_21rocsparse_index_base_b
	.p2align	8
	.type	_ZN9rocsparseL22bsrxmvn_general_kernelILj64ELj8EfliDF16_DF16_fEEv20rocsparse_direction_NS_24const_host_device_scalarIT1_EET3_PKS5_PKT2_SA_S7_PKT4_S5_PKT5_S4_PT6_21rocsparse_index_base_b,@function
_ZN9rocsparseL22bsrxmvn_general_kernelILj64ELj8EfliDF16_DF16_fEEv20rocsparse_direction_NS_24const_host_device_scalarIT1_EET3_PKS5_PKT2_SA_S7_PKT4_S5_PKT5_S4_PT6_21rocsparse_index_base_b: ; @_ZN9rocsparseL22bsrxmvn_general_kernelILj64ELj8EfliDF16_DF16_fEEv20rocsparse_direction_NS_24const_host_device_scalarIT1_EET3_PKS5_PKT2_SA_S7_PKT4_S5_PKT5_S4_PT6_21rocsparse_index_base_b
; %bb.0:
	s_clause 0x2
	s_load_dwordx2 s[2:3], s[4:5], 0x60
	s_load_dwordx2 s[16:17], s[4:5], 0x8
	;; [unrolled: 1-line block ×3, first 2 shown]
	s_waitcnt lgkmcnt(0)
	s_bitcmp1_b32 s3, 0
	s_cselect_b32 s0, -1, 0
	s_and_b32 vcc_lo, exec_lo, s0
	s_xor_b32 s0, s0, -1
	s_cbranch_vccnz .LBB57_2
; %bb.1:
	s_load_dword s16, s[16:17], 0x0
.LBB57_2:
	s_andn2_b32 vcc_lo, exec_lo, s0
	s_cbranch_vccnz .LBB57_4
; %bb.3:
	s_load_dword s18, s[18:19], 0x0
.LBB57_4:
	s_waitcnt lgkmcnt(0)
	v_cmp_neq_f32_e64 s0, s16, 0
	v_cmp_neq_f32_e64 s1, s18, 1.0
	s_or_b32 s0, s0, s1
	s_andn2_b32 vcc_lo, exec_lo, s0
	s_cbranch_vccnz .LBB57_26
; %bb.5:
	s_load_dwordx2 s[0:1], s[4:5], 0x18
	s_waitcnt lgkmcnt(0)
	s_cmp_eq_u64 s[0:1], 0
	s_cbranch_scc1 .LBB57_7
; %bb.6:
	s_ashr_i32 s7, s6, 31
	s_lshl_b64 s[6:7], s[6:7], 2
	s_add_u32 s0, s0, s6
	s_addc_u32 s1, s1, s7
	s_load_dword s0, s[0:1], 0x0
	s_waitcnt lgkmcnt(0)
	s_sub_i32 s6, s0, s2
.LBB57_7:
	s_load_dword s3, s[4:5], 0x40
	v_lshrrev_b32_e32 v1, 3, v0
	s_mov_b32 s0, exec_lo
	s_waitcnt lgkmcnt(0)
	v_cmpx_gt_i32_e64 s3, v1
	s_cbranch_execz .LBB57_26
; %bb.8:
	s_load_dwordx8 s[8:15], s[4:5], 0x20
	s_ashr_i32 s7, s6, 31
	s_load_dword s28, s[4:5], 0x0
	s_lshl_b64 s[0:1], s[6:7], 3
	v_mbcnt_lo_u32_b32 v2, -1, 0
	v_and_b32_e32 v3, 7, v0
	s_mul_hi_u32 s19, s3, s3
	s_mul_i32 s22, s3, s3
	v_mul_lo_u32 v0, s3, v1
	v_xor_b32_e32 v5, 4, v2
	v_xor_b32_e32 v6, 2, v2
	;; [unrolled: 1-line block ×3, first 2 shown]
	v_mul_lo_u32 v11, s3, v3
	v_cmp_eq_f32_e64 s23, s18, 0
	v_cmp_gt_i32_e32 vcc_lo, 32, v5
	v_mov_b32_e32 v4, 0
	s_mov_b32 s17, 0
	v_cndmask_b32_e32 v5, v2, v5, vcc_lo
	s_waitcnt lgkmcnt(0)
	s_add_u32 s24, s8, s0
	s_addc_u32 s25, s9, s1
	v_cmp_gt_i32_e32 vcc_lo, 32, v6
	s_load_dwordx2 s[26:27], s[24:25], 0x0
	s_clause 0x1
	s_load_dwordx2 s[8:9], s[4:5], 0x58
	s_load_dwordx2 s[20:21], s[4:5], 0x48
	v_lshlrev_b32_e32 v12, 2, v5
	v_cndmask_b32_e32 v6, v2, v6, vcc_lo
	v_cmp_gt_i32_e32 vcc_lo, 32, v7
	v_lshlrev_b32_e32 v13, 2, v6
	v_cndmask_b32_e32 v2, v2, v7, vcc_lo
	v_lshlrev_b32_e32 v14, 2, v2
	s_waitcnt lgkmcnt(0)
	s_sub_u32 s4, s26, s2
	s_subb_u32 s5, s27, 0
	s_add_u32 s7, s24, 8
	s_addc_u32 s25, s25, 0
	s_add_u32 s0, s10, s0
	s_addc_u32 s1, s11, s1
	s_cmp_eq_u64 s[10:11], 0
	s_mul_i32 s24, s6, s3
	s_cselect_b32 s1, s25, s1
	s_cselect_b32 s0, s7, s0
	s_mul_i32 s29, s4, s19
	s_load_dwordx2 s[10:11], s[0:1], 0x0
	s_mul_hi_u32 s30, s4, s22
	v_cmp_gt_u32_e64 s0, s3, v3
	v_cmp_eq_u32_e64 s1, 7, v3
	s_mul_i32 s31, s5, s22
	s_waitcnt lgkmcnt(0)
	s_sub_u32 s6, s10, s2
	s_subb_u32 s7, s11, 0
	s_cmp_lg_u32 s28, 0
	v_cmp_lt_i64_e64 s25, s[26:27], s[10:11]
	s_cselect_b32 s26, -1, 0
	s_add_i32 s10, s30, s29
	s_mul_i32 s27, s4, s22
	s_add_i32 s28, s10, s31
	s_lshl_b32 s29, s3, 3
	s_branch .LBB57_10
.LBB57_9:                               ;   in Loop: Header=BB57_10 Depth=1
	s_or_b32 exec_lo, exec_lo, s10
	v_add_nc_u32_e32 v1, 8, v1
	v_add_nc_u32_e32 v0, s29, v0
	v_cmp_le_i32_e32 vcc_lo, s3, v1
	s_or_b32 s17, vcc_lo, s17
	s_andn2_b32 exec_lo, exec_lo, s17
	s_cbranch_execz .LBB57_26
.LBB57_10:                              ; =>This Loop Header: Depth=1
                                        ;     Child Loop BB57_14 Depth 2
                                        ;       Child Loop BB57_17 Depth 3
	v_mov_b32_e32 v15, 0
	s_andn2_b32 vcc_lo, exec_lo, s25
	s_cbranch_vccnz .LBB57_21
; %bb.11:                               ;   in Loop: Header=BB57_10 Depth=1
	s_waitcnt lgkmcnt(0)
	v_ashrrev_i32_e32 v5, 31, v0
	v_add_co_u32 v16, vcc_lo, s27, v0
	v_ashrrev_i32_e32 v2, 31, v1
	v_mov_b32_e32 v15, 0
	v_add_co_ci_u32_e64 v17, null, s28, v5, vcc_lo
	s_mov_b64 s[10:11], s[4:5]
	s_branch .LBB57_14
.LBB57_12:                              ;   in Loop: Header=BB57_14 Depth=2
	s_inst_prefetch 0x2
	s_or_b32 exec_lo, exec_lo, s31
.LBB57_13:                              ;   in Loop: Header=BB57_14 Depth=2
	s_or_b32 exec_lo, exec_lo, s30
	s_add_u32 s10, s10, 1
	s_addc_u32 s11, s11, 0
	v_add_co_u32 v16, vcc_lo, v16, s22
	v_cmp_ge_i64_e64 s30, s[10:11], s[6:7]
	v_add_co_ci_u32_e64 v17, null, s19, v17, vcc_lo
	s_and_b32 vcc_lo, exec_lo, s30
	s_cbranch_vccnz .LBB57_21
.LBB57_14:                              ;   Parent Loop BB57_10 Depth=1
                                        ; =>  This Loop Header: Depth=2
                                        ;       Child Loop BB57_17 Depth 3
	s_and_saveexec_b32 s30, s0
	s_cbranch_execz .LBB57_13
; %bb.15:                               ;   in Loop: Header=BB57_14 Depth=2
	s_lshl_b64 s[34:35], s[10:11], 2
	v_mad_u64_u32 v[5:6], null, s22, s10, v[1:2]
	s_add_u32 s34, s12, s34
	s_addc_u32 s35, s13, s35
	s_mul_i32 s33, s19, s10
	s_load_dword s31, s[34:35], 0x0
	s_mul_i32 s34, s22, s11
	v_mov_b32_e32 v8, v4
	v_mov_b32_e32 v18, v11
	;; [unrolled: 1-line block ×3, first 2 shown]
	v_add3_u32 v6, s34, s33, v6
	s_waitcnt lgkmcnt(0)
	s_sub_i32 s31, s31, s2
	s_mul_i32 s33, s31, s3
	s_mov_b32 s31, 0
	s_inst_prefetch 0x1
	s_branch .LBB57_17
	.p2align	6
.LBB57_16:                              ;   in Loop: Header=BB57_17 Depth=3
	v_add_nc_u32_e32 v19, s33, v7
	v_lshlrev_b64 v[9:10], 1, v[9:10]
	v_add_nc_u32_e32 v18, s29, v18
	v_ashrrev_i32_e32 v20, 31, v19
	v_add_co_u32 v9, vcc_lo, s14, v9
	v_add_co_ci_u32_e64 v10, null, s15, v10, vcc_lo
	v_lshlrev_b64 v[19:20], 1, v[19:20]
	v_add_co_u32 v19, vcc_lo, s20, v19
	v_add_co_ci_u32_e64 v20, null, s21, v20, vcc_lo
	v_add_co_u32 v7, vcc_lo, v7, 8
	global_load_ushort v9, v[9:10], off
	global_load_ushort v10, v[19:20], off
	v_add_co_ci_u32_e64 v8, null, 0, v8, vcc_lo
	v_cmp_le_i32_e32 vcc_lo, s3, v7
	s_or_b32 s31, vcc_lo, s31
	s_waitcnt vmcnt(0)
	v_fma_mix_f32 v15, v9, v10, v15 op_sel_hi:[1,1,0]
	s_andn2_b32 exec_lo, exec_lo, s31
	s_cbranch_execz .LBB57_12
.LBB57_17:                              ;   Parent Loop BB57_10 Depth=1
                                        ;     Parent Loop BB57_14 Depth=2
                                        ; =>    This Inner Loop Header: Depth=3
	s_and_b32 vcc_lo, exec_lo, s26
	s_cbranch_vccz .LBB57_19
; %bb.18:                               ;   in Loop: Header=BB57_17 Depth=3
	v_ashrrev_i32_e32 v10, 31, v18
	v_add_co_u32 v9, vcc_lo, v5, v18
	v_add_co_ci_u32_e64 v10, null, v6, v10, vcc_lo
	s_cbranch_execnz .LBB57_16
	s_branch .LBB57_20
.LBB57_19:                              ;   in Loop: Header=BB57_17 Depth=3
                                        ; implicit-def: $vgpr9_vgpr10
.LBB57_20:                              ;   in Loop: Header=BB57_17 Depth=3
	v_add_co_u32 v9, vcc_lo, v16, v7
	v_add_co_ci_u32_e64 v10, null, v17, v8, vcc_lo
	s_branch .LBB57_16
.LBB57_21:                              ;   in Loop: Header=BB57_10 Depth=1
	ds_bpermute_b32 v2, v12, v15
	s_waitcnt lgkmcnt(0)
	v_add_f32_e32 v2, v15, v2
	ds_bpermute_b32 v5, v13, v2
	s_waitcnt lgkmcnt(0)
	v_add_f32_e32 v2, v2, v5
	ds_bpermute_b32 v5, v14, v2
	s_and_saveexec_b32 s10, s1
	s_cbranch_execz .LBB57_9
; %bb.22:                               ;   in Loop: Header=BB57_10 Depth=1
	s_waitcnt lgkmcnt(0)
	v_add_f32_e32 v2, v2, v5
	v_add_nc_u32_e32 v5, s24, v1
	s_and_b32 vcc_lo, exec_lo, s23
	v_mul_f32_e32 v2, s16, v2
	v_ashrrev_i32_e32 v6, 31, v5
	s_cbranch_vccz .LBB57_24
; %bb.23:                               ;   in Loop: Header=BB57_10 Depth=1
	v_lshlrev_b64 v[7:8], 2, v[5:6]
	v_add_co_u32 v7, vcc_lo, s8, v7
	v_add_co_ci_u32_e64 v8, null, s9, v8, vcc_lo
	global_store_dword v[7:8], v2, off
	s_cbranch_execnz .LBB57_9
	s_branch .LBB57_25
.LBB57_24:                              ;   in Loop: Header=BB57_10 Depth=1
.LBB57_25:                              ;   in Loop: Header=BB57_10 Depth=1
	v_lshlrev_b64 v[5:6], 2, v[5:6]
	v_add_co_u32 v5, vcc_lo, s8, v5
	v_add_co_ci_u32_e64 v6, null, s9, v6, vcc_lo
	global_load_dword v7, v[5:6], off
	s_waitcnt vmcnt(0)
	v_fmac_f32_e32 v2, s18, v7
	global_store_dword v[5:6], v2, off
	s_branch .LBB57_9
.LBB57_26:
	s_endpgm
	.section	.rodata,"a",@progbits
	.p2align	6, 0x0
	.amdhsa_kernel _ZN9rocsparseL22bsrxmvn_general_kernelILj64ELj8EfliDF16_DF16_fEEv20rocsparse_direction_NS_24const_host_device_scalarIT1_EET3_PKS5_PKT2_SA_S7_PKT4_S5_PKT5_S4_PT6_21rocsparse_index_base_b
		.amdhsa_group_segment_fixed_size 0
		.amdhsa_private_segment_fixed_size 0
		.amdhsa_kernarg_size 104
		.amdhsa_user_sgpr_count 6
		.amdhsa_user_sgpr_private_segment_buffer 1
		.amdhsa_user_sgpr_dispatch_ptr 0
		.amdhsa_user_sgpr_queue_ptr 0
		.amdhsa_user_sgpr_kernarg_segment_ptr 1
		.amdhsa_user_sgpr_dispatch_id 0
		.amdhsa_user_sgpr_flat_scratch_init 0
		.amdhsa_user_sgpr_private_segment_size 0
		.amdhsa_wavefront_size32 1
		.amdhsa_uses_dynamic_stack 0
		.amdhsa_system_sgpr_private_segment_wavefront_offset 0
		.amdhsa_system_sgpr_workgroup_id_x 1
		.amdhsa_system_sgpr_workgroup_id_y 0
		.amdhsa_system_sgpr_workgroup_id_z 0
		.amdhsa_system_sgpr_workgroup_info 0
		.amdhsa_system_vgpr_workitem_id 0
		.amdhsa_next_free_vgpr 21
		.amdhsa_next_free_sgpr 36
		.amdhsa_reserve_vcc 1
		.amdhsa_reserve_flat_scratch 0
		.amdhsa_float_round_mode_32 0
		.amdhsa_float_round_mode_16_64 0
		.amdhsa_float_denorm_mode_32 3
		.amdhsa_float_denorm_mode_16_64 3
		.amdhsa_dx10_clamp 1
		.amdhsa_ieee_mode 1
		.amdhsa_fp16_overflow 0
		.amdhsa_workgroup_processor_mode 1
		.amdhsa_memory_ordered 1
		.amdhsa_forward_progress 1
		.amdhsa_shared_vgpr_count 0
		.amdhsa_exception_fp_ieee_invalid_op 0
		.amdhsa_exception_fp_denorm_src 0
		.amdhsa_exception_fp_ieee_div_zero 0
		.amdhsa_exception_fp_ieee_overflow 0
		.amdhsa_exception_fp_ieee_underflow 0
		.amdhsa_exception_fp_ieee_inexact 0
		.amdhsa_exception_int_div_zero 0
	.end_amdhsa_kernel
	.section	.text._ZN9rocsparseL22bsrxmvn_general_kernelILj64ELj8EfliDF16_DF16_fEEv20rocsparse_direction_NS_24const_host_device_scalarIT1_EET3_PKS5_PKT2_SA_S7_PKT4_S5_PKT5_S4_PT6_21rocsparse_index_base_b,"axG",@progbits,_ZN9rocsparseL22bsrxmvn_general_kernelILj64ELj8EfliDF16_DF16_fEEv20rocsparse_direction_NS_24const_host_device_scalarIT1_EET3_PKS5_PKT2_SA_S7_PKT4_S5_PKT5_S4_PT6_21rocsparse_index_base_b,comdat
.Lfunc_end57:
	.size	_ZN9rocsparseL22bsrxmvn_general_kernelILj64ELj8EfliDF16_DF16_fEEv20rocsparse_direction_NS_24const_host_device_scalarIT1_EET3_PKS5_PKT2_SA_S7_PKT4_S5_PKT5_S4_PT6_21rocsparse_index_base_b, .Lfunc_end57-_ZN9rocsparseL22bsrxmvn_general_kernelILj64ELj8EfliDF16_DF16_fEEv20rocsparse_direction_NS_24const_host_device_scalarIT1_EET3_PKS5_PKT2_SA_S7_PKT4_S5_PKT5_S4_PT6_21rocsparse_index_base_b
                                        ; -- End function
	.set _ZN9rocsparseL22bsrxmvn_general_kernelILj64ELj8EfliDF16_DF16_fEEv20rocsparse_direction_NS_24const_host_device_scalarIT1_EET3_PKS5_PKT2_SA_S7_PKT4_S5_PKT5_S4_PT6_21rocsparse_index_base_b.num_vgpr, 21
	.set _ZN9rocsparseL22bsrxmvn_general_kernelILj64ELj8EfliDF16_DF16_fEEv20rocsparse_direction_NS_24const_host_device_scalarIT1_EET3_PKS5_PKT2_SA_S7_PKT4_S5_PKT5_S4_PT6_21rocsparse_index_base_b.num_agpr, 0
	.set _ZN9rocsparseL22bsrxmvn_general_kernelILj64ELj8EfliDF16_DF16_fEEv20rocsparse_direction_NS_24const_host_device_scalarIT1_EET3_PKS5_PKT2_SA_S7_PKT4_S5_PKT5_S4_PT6_21rocsparse_index_base_b.numbered_sgpr, 36
	.set _ZN9rocsparseL22bsrxmvn_general_kernelILj64ELj8EfliDF16_DF16_fEEv20rocsparse_direction_NS_24const_host_device_scalarIT1_EET3_PKS5_PKT2_SA_S7_PKT4_S5_PKT5_S4_PT6_21rocsparse_index_base_b.num_named_barrier, 0
	.set _ZN9rocsparseL22bsrxmvn_general_kernelILj64ELj8EfliDF16_DF16_fEEv20rocsparse_direction_NS_24const_host_device_scalarIT1_EET3_PKS5_PKT2_SA_S7_PKT4_S5_PKT5_S4_PT6_21rocsparse_index_base_b.private_seg_size, 0
	.set _ZN9rocsparseL22bsrxmvn_general_kernelILj64ELj8EfliDF16_DF16_fEEv20rocsparse_direction_NS_24const_host_device_scalarIT1_EET3_PKS5_PKT2_SA_S7_PKT4_S5_PKT5_S4_PT6_21rocsparse_index_base_b.uses_vcc, 1
	.set _ZN9rocsparseL22bsrxmvn_general_kernelILj64ELj8EfliDF16_DF16_fEEv20rocsparse_direction_NS_24const_host_device_scalarIT1_EET3_PKS5_PKT2_SA_S7_PKT4_S5_PKT5_S4_PT6_21rocsparse_index_base_b.uses_flat_scratch, 0
	.set _ZN9rocsparseL22bsrxmvn_general_kernelILj64ELj8EfliDF16_DF16_fEEv20rocsparse_direction_NS_24const_host_device_scalarIT1_EET3_PKS5_PKT2_SA_S7_PKT4_S5_PKT5_S4_PT6_21rocsparse_index_base_b.has_dyn_sized_stack, 0
	.set _ZN9rocsparseL22bsrxmvn_general_kernelILj64ELj8EfliDF16_DF16_fEEv20rocsparse_direction_NS_24const_host_device_scalarIT1_EET3_PKS5_PKT2_SA_S7_PKT4_S5_PKT5_S4_PT6_21rocsparse_index_base_b.has_recursion, 0
	.set _ZN9rocsparseL22bsrxmvn_general_kernelILj64ELj8EfliDF16_DF16_fEEv20rocsparse_direction_NS_24const_host_device_scalarIT1_EET3_PKS5_PKT2_SA_S7_PKT4_S5_PKT5_S4_PT6_21rocsparse_index_base_b.has_indirect_call, 0
	.section	.AMDGPU.csdata,"",@progbits
; Kernel info:
; codeLenInByte = 1052
; TotalNumSgprs: 38
; NumVgprs: 21
; ScratchSize: 0
; MemoryBound: 0
; FloatMode: 240
; IeeeMode: 1
; LDSByteSize: 0 bytes/workgroup (compile time only)
; SGPRBlocks: 0
; VGPRBlocks: 2
; NumSGPRsForWavesPerEU: 38
; NumVGPRsForWavesPerEU: 21
; Occupancy: 16
; WaveLimiterHint : 1
; COMPUTE_PGM_RSRC2:SCRATCH_EN: 0
; COMPUTE_PGM_RSRC2:USER_SGPR: 6
; COMPUTE_PGM_RSRC2:TRAP_HANDLER: 0
; COMPUTE_PGM_RSRC2:TGID_X_EN: 1
; COMPUTE_PGM_RSRC2:TGID_Y_EN: 0
; COMPUTE_PGM_RSRC2:TGID_Z_EN: 0
; COMPUTE_PGM_RSRC2:TIDIG_COMP_CNT: 0
	.section	.text._ZN9rocsparseL22bsrxmvn_general_kernelILj256ELj16EfliDF16_DF16_fEEv20rocsparse_direction_NS_24const_host_device_scalarIT1_EET3_PKS5_PKT2_SA_S7_PKT4_S5_PKT5_S4_PT6_21rocsparse_index_base_b,"axG",@progbits,_ZN9rocsparseL22bsrxmvn_general_kernelILj256ELj16EfliDF16_DF16_fEEv20rocsparse_direction_NS_24const_host_device_scalarIT1_EET3_PKS5_PKT2_SA_S7_PKT4_S5_PKT5_S4_PT6_21rocsparse_index_base_b,comdat
	.globl	_ZN9rocsparseL22bsrxmvn_general_kernelILj256ELj16EfliDF16_DF16_fEEv20rocsparse_direction_NS_24const_host_device_scalarIT1_EET3_PKS5_PKT2_SA_S7_PKT4_S5_PKT5_S4_PT6_21rocsparse_index_base_b ; -- Begin function _ZN9rocsparseL22bsrxmvn_general_kernelILj256ELj16EfliDF16_DF16_fEEv20rocsparse_direction_NS_24const_host_device_scalarIT1_EET3_PKS5_PKT2_SA_S7_PKT4_S5_PKT5_S4_PT6_21rocsparse_index_base_b
	.p2align	8
	.type	_ZN9rocsparseL22bsrxmvn_general_kernelILj256ELj16EfliDF16_DF16_fEEv20rocsparse_direction_NS_24const_host_device_scalarIT1_EET3_PKS5_PKT2_SA_S7_PKT4_S5_PKT5_S4_PT6_21rocsparse_index_base_b,@function
_ZN9rocsparseL22bsrxmvn_general_kernelILj256ELj16EfliDF16_DF16_fEEv20rocsparse_direction_NS_24const_host_device_scalarIT1_EET3_PKS5_PKT2_SA_S7_PKT4_S5_PKT5_S4_PT6_21rocsparse_index_base_b: ; @_ZN9rocsparseL22bsrxmvn_general_kernelILj256ELj16EfliDF16_DF16_fEEv20rocsparse_direction_NS_24const_host_device_scalarIT1_EET3_PKS5_PKT2_SA_S7_PKT4_S5_PKT5_S4_PT6_21rocsparse_index_base_b
; %bb.0:
	s_clause 0x2
	s_load_dwordx2 s[2:3], s[4:5], 0x60
	s_load_dwordx2 s[16:17], s[4:5], 0x8
	;; [unrolled: 1-line block ×3, first 2 shown]
	s_waitcnt lgkmcnt(0)
	s_bitcmp1_b32 s3, 0
	s_cselect_b32 s0, -1, 0
	s_and_b32 vcc_lo, exec_lo, s0
	s_xor_b32 s0, s0, -1
	s_cbranch_vccnz .LBB58_2
; %bb.1:
	s_load_dword s16, s[16:17], 0x0
.LBB58_2:
	s_andn2_b32 vcc_lo, exec_lo, s0
	s_cbranch_vccnz .LBB58_4
; %bb.3:
	s_load_dword s18, s[18:19], 0x0
.LBB58_4:
	s_waitcnt lgkmcnt(0)
	v_cmp_neq_f32_e64 s0, s16, 0
	v_cmp_neq_f32_e64 s1, s18, 1.0
	s_or_b32 s0, s0, s1
	s_andn2_b32 vcc_lo, exec_lo, s0
	s_cbranch_vccnz .LBB58_26
; %bb.5:
	s_load_dwordx2 s[0:1], s[4:5], 0x18
	s_waitcnt lgkmcnt(0)
	s_cmp_eq_u64 s[0:1], 0
	s_cbranch_scc1 .LBB58_7
; %bb.6:
	s_ashr_i32 s7, s6, 31
	s_lshl_b64 s[6:7], s[6:7], 2
	s_add_u32 s0, s0, s6
	s_addc_u32 s1, s1, s7
	s_load_dword s0, s[0:1], 0x0
	s_waitcnt lgkmcnt(0)
	s_sub_i32 s6, s0, s2
.LBB58_7:
	s_load_dword s3, s[4:5], 0x40
	v_lshrrev_b32_e32 v1, 4, v0
	s_mov_b32 s0, exec_lo
	s_waitcnt lgkmcnt(0)
	v_cmpx_gt_i32_e64 s3, v1
	s_cbranch_execz .LBB58_26
; %bb.8:
	s_load_dwordx8 s[8:15], s[4:5], 0x20
	s_ashr_i32 s7, s6, 31
	v_mbcnt_lo_u32_b32 v2, -1, 0
	s_lshl_b64 s[28:29], s[6:7], 3
	s_load_dword s27, s[4:5], 0x0
	s_mul_i32 s26, s6, s3
	v_and_b32_e32 v3, 15, v0
	v_xor_b32_e32 v5, 8, v2
	v_xor_b32_e32 v6, 4, v2
	;; [unrolled: 1-line block ×4, first 2 shown]
	s_mul_hi_u32 s19, s3, s3
	v_cmp_gt_i32_e32 vcc_lo, 32, v5
	s_mul_i32 s24, s3, s3
	v_mul_lo_u32 v0, s3, v1
	v_mul_lo_u32 v11, s3, v3
	v_cmp_eq_f32_e64 s25, s18, 0
	v_cndmask_b32_e32 v5, v2, v5, vcc_lo
	v_cmp_gt_i32_e32 vcc_lo, 32, v6
	v_mov_b32_e32 v4, 0
	s_waitcnt lgkmcnt(0)
	s_add_u32 s30, s8, s28
	s_addc_u32 s31, s9, s29
	v_cmp_gt_u32_e64 s0, s3, v3
	s_load_dwordx2 s[22:23], s[30:31], 0x0
	s_clause 0x1
	s_load_dwordx2 s[8:9], s[4:5], 0x58
	s_load_dwordx2 s[20:21], s[4:5], 0x48
	v_cndmask_b32_e32 v6, v2, v6, vcc_lo
	v_cmp_gt_i32_e32 vcc_lo, 32, v7
	v_lshlrev_b32_e32 v12, 2, v5
	s_mov_b32 s17, 0
	v_lshlrev_b32_e32 v13, 2, v6
	v_cndmask_b32_e32 v7, v2, v7, vcc_lo
	v_cmp_gt_i32_e32 vcc_lo, 32, v8
	v_lshlrev_b32_e32 v14, 2, v7
	v_cndmask_b32_e32 v2, v2, v8, vcc_lo
	v_lshlrev_b32_e32 v15, 2, v2
	s_waitcnt lgkmcnt(0)
	s_sub_u32 s4, s22, s2
	s_subb_u32 s5, s23, 0
	s_add_u32 s1, s30, 8
	s_addc_u32 s6, s31, 0
	s_add_u32 s28, s10, s28
	s_addc_u32 s7, s11, s29
	s_cmp_eq_u64 s[10:11], 0
	s_mul_hi_u32 s29, s4, s24
	s_cselect_b32 s7, s6, s7
	s_cselect_b32 s6, s1, s28
	s_mul_i32 s28, s4, s19
	s_load_dwordx2 s[10:11], s[6:7], 0x0
	v_cmp_eq_u32_e64 s1, 15, v3
	s_mul_i32 s30, s5, s24
	s_waitcnt lgkmcnt(0)
	s_sub_u32 s6, s10, s2
	s_subb_u32 s7, s11, 0
	s_cmp_lg_u32 s27, 0
	v_cmp_lt_i64_e64 s22, s[22:23], s[10:11]
	s_cselect_b32 s23, -1, 0
	s_add_i32 s10, s29, s28
	s_mul_i32 s27, s4, s24
	s_add_i32 s28, s10, s30
	s_lshl_b32 s29, s3, 4
	s_branch .LBB58_10
.LBB58_9:                               ;   in Loop: Header=BB58_10 Depth=1
	s_or_b32 exec_lo, exec_lo, s10
	v_add_nc_u32_e32 v1, 16, v1
	v_add_nc_u32_e32 v0, s29, v0
	v_cmp_le_i32_e32 vcc_lo, s3, v1
	s_or_b32 s17, vcc_lo, s17
	s_andn2_b32 exec_lo, exec_lo, s17
	s_cbranch_execz .LBB58_26
.LBB58_10:                              ; =>This Loop Header: Depth=1
                                        ;     Child Loop BB58_14 Depth 2
                                        ;       Child Loop BB58_17 Depth 3
	v_mov_b32_e32 v16, 0
	s_andn2_b32 vcc_lo, exec_lo, s22
	s_cbranch_vccnz .LBB58_21
; %bb.11:                               ;   in Loop: Header=BB58_10 Depth=1
	s_waitcnt lgkmcnt(0)
	v_ashrrev_i32_e32 v5, 31, v0
	v_add_co_u32 v17, vcc_lo, s27, v0
	v_ashrrev_i32_e32 v2, 31, v1
	v_mov_b32_e32 v16, 0
	v_add_co_ci_u32_e64 v18, null, s28, v5, vcc_lo
	s_mov_b64 s[10:11], s[4:5]
	s_branch .LBB58_14
.LBB58_12:                              ;   in Loop: Header=BB58_14 Depth=2
	s_inst_prefetch 0x2
	s_or_b32 exec_lo, exec_lo, s31
.LBB58_13:                              ;   in Loop: Header=BB58_14 Depth=2
	s_or_b32 exec_lo, exec_lo, s30
	s_add_u32 s10, s10, 1
	s_addc_u32 s11, s11, 0
	v_add_co_u32 v17, vcc_lo, v17, s24
	v_cmp_ge_i64_e64 s30, s[10:11], s[6:7]
	v_add_co_ci_u32_e64 v18, null, s19, v18, vcc_lo
	s_and_b32 vcc_lo, exec_lo, s30
	s_cbranch_vccnz .LBB58_21
.LBB58_14:                              ;   Parent Loop BB58_10 Depth=1
                                        ; =>  This Loop Header: Depth=2
                                        ;       Child Loop BB58_17 Depth 3
	s_and_saveexec_b32 s30, s0
	s_cbranch_execz .LBB58_13
; %bb.15:                               ;   in Loop: Header=BB58_14 Depth=2
	s_lshl_b64 s[34:35], s[10:11], 2
	v_mad_u64_u32 v[5:6], null, s24, s10, v[1:2]
	s_add_u32 s34, s12, s34
	s_addc_u32 s35, s13, s35
	s_mul_i32 s33, s19, s10
	s_load_dword s31, s[34:35], 0x0
	s_mul_i32 s34, s24, s11
	v_mov_b32_e32 v8, v4
	v_mov_b32_e32 v19, v11
	;; [unrolled: 1-line block ×3, first 2 shown]
	v_add3_u32 v6, s34, s33, v6
	s_waitcnt lgkmcnt(0)
	s_sub_i32 s31, s31, s2
	s_mul_i32 s33, s31, s3
	s_mov_b32 s31, 0
	s_inst_prefetch 0x1
	s_branch .LBB58_17
	.p2align	6
.LBB58_16:                              ;   in Loop: Header=BB58_17 Depth=3
	v_add_nc_u32_e32 v20, s33, v7
	v_lshlrev_b64 v[9:10], 1, v[9:10]
	v_add_nc_u32_e32 v19, s29, v19
	v_ashrrev_i32_e32 v21, 31, v20
	v_add_co_u32 v9, vcc_lo, s14, v9
	v_add_co_ci_u32_e64 v10, null, s15, v10, vcc_lo
	v_lshlrev_b64 v[20:21], 1, v[20:21]
	v_add_co_u32 v20, vcc_lo, s20, v20
	v_add_co_ci_u32_e64 v21, null, s21, v21, vcc_lo
	v_add_co_u32 v7, vcc_lo, v7, 16
	global_load_ushort v9, v[9:10], off
	global_load_ushort v10, v[20:21], off
	v_add_co_ci_u32_e64 v8, null, 0, v8, vcc_lo
	v_cmp_le_i32_e32 vcc_lo, s3, v7
	s_or_b32 s31, vcc_lo, s31
	s_waitcnt vmcnt(0)
	v_fma_mix_f32 v16, v9, v10, v16 op_sel_hi:[1,1,0]
	s_andn2_b32 exec_lo, exec_lo, s31
	s_cbranch_execz .LBB58_12
.LBB58_17:                              ;   Parent Loop BB58_10 Depth=1
                                        ;     Parent Loop BB58_14 Depth=2
                                        ; =>    This Inner Loop Header: Depth=3
	s_and_b32 vcc_lo, exec_lo, s23
	s_cbranch_vccz .LBB58_19
; %bb.18:                               ;   in Loop: Header=BB58_17 Depth=3
	v_ashrrev_i32_e32 v10, 31, v19
	v_add_co_u32 v9, vcc_lo, v5, v19
	v_add_co_ci_u32_e64 v10, null, v6, v10, vcc_lo
	s_cbranch_execnz .LBB58_16
	s_branch .LBB58_20
.LBB58_19:                              ;   in Loop: Header=BB58_17 Depth=3
                                        ; implicit-def: $vgpr9_vgpr10
.LBB58_20:                              ;   in Loop: Header=BB58_17 Depth=3
	v_add_co_u32 v9, vcc_lo, v17, v7
	v_add_co_ci_u32_e64 v10, null, v18, v8, vcc_lo
	s_branch .LBB58_16
.LBB58_21:                              ;   in Loop: Header=BB58_10 Depth=1
	ds_bpermute_b32 v2, v12, v16
	s_waitcnt lgkmcnt(0)
	v_add_f32_e32 v2, v16, v2
	ds_bpermute_b32 v5, v13, v2
	s_waitcnt lgkmcnt(0)
	v_add_f32_e32 v2, v2, v5
	ds_bpermute_b32 v5, v14, v2
	s_waitcnt lgkmcnt(0)
	v_add_f32_e32 v2, v2, v5
	ds_bpermute_b32 v5, v15, v2
	s_and_saveexec_b32 s10, s1
	s_cbranch_execz .LBB58_9
; %bb.22:                               ;   in Loop: Header=BB58_10 Depth=1
	s_waitcnt lgkmcnt(0)
	v_add_f32_e32 v2, v2, v5
	v_add_nc_u32_e32 v5, s26, v1
	s_and_b32 vcc_lo, exec_lo, s25
	v_mul_f32_e32 v2, s16, v2
	v_ashrrev_i32_e32 v6, 31, v5
	s_cbranch_vccz .LBB58_24
; %bb.23:                               ;   in Loop: Header=BB58_10 Depth=1
	v_lshlrev_b64 v[7:8], 2, v[5:6]
	v_add_co_u32 v7, vcc_lo, s8, v7
	v_add_co_ci_u32_e64 v8, null, s9, v8, vcc_lo
	global_store_dword v[7:8], v2, off
	s_cbranch_execnz .LBB58_9
	s_branch .LBB58_25
.LBB58_24:                              ;   in Loop: Header=BB58_10 Depth=1
.LBB58_25:                              ;   in Loop: Header=BB58_10 Depth=1
	v_lshlrev_b64 v[5:6], 2, v[5:6]
	v_add_co_u32 v5, vcc_lo, s8, v5
	v_add_co_ci_u32_e64 v6, null, s9, v6, vcc_lo
	global_load_dword v7, v[5:6], off
	s_waitcnt vmcnt(0)
	v_fmac_f32_e32 v2, s18, v7
	global_store_dword v[5:6], v2, off
	s_branch .LBB58_9
.LBB58_26:
	s_endpgm
	.section	.rodata,"a",@progbits
	.p2align	6, 0x0
	.amdhsa_kernel _ZN9rocsparseL22bsrxmvn_general_kernelILj256ELj16EfliDF16_DF16_fEEv20rocsparse_direction_NS_24const_host_device_scalarIT1_EET3_PKS5_PKT2_SA_S7_PKT4_S5_PKT5_S4_PT6_21rocsparse_index_base_b
		.amdhsa_group_segment_fixed_size 0
		.amdhsa_private_segment_fixed_size 0
		.amdhsa_kernarg_size 104
		.amdhsa_user_sgpr_count 6
		.amdhsa_user_sgpr_private_segment_buffer 1
		.amdhsa_user_sgpr_dispatch_ptr 0
		.amdhsa_user_sgpr_queue_ptr 0
		.amdhsa_user_sgpr_kernarg_segment_ptr 1
		.amdhsa_user_sgpr_dispatch_id 0
		.amdhsa_user_sgpr_flat_scratch_init 0
		.amdhsa_user_sgpr_private_segment_size 0
		.amdhsa_wavefront_size32 1
		.amdhsa_uses_dynamic_stack 0
		.amdhsa_system_sgpr_private_segment_wavefront_offset 0
		.amdhsa_system_sgpr_workgroup_id_x 1
		.amdhsa_system_sgpr_workgroup_id_y 0
		.amdhsa_system_sgpr_workgroup_id_z 0
		.amdhsa_system_sgpr_workgroup_info 0
		.amdhsa_system_vgpr_workitem_id 0
		.amdhsa_next_free_vgpr 22
		.amdhsa_next_free_sgpr 36
		.amdhsa_reserve_vcc 1
		.amdhsa_reserve_flat_scratch 0
		.amdhsa_float_round_mode_32 0
		.amdhsa_float_round_mode_16_64 0
		.amdhsa_float_denorm_mode_32 3
		.amdhsa_float_denorm_mode_16_64 3
		.amdhsa_dx10_clamp 1
		.amdhsa_ieee_mode 1
		.amdhsa_fp16_overflow 0
		.amdhsa_workgroup_processor_mode 1
		.amdhsa_memory_ordered 1
		.amdhsa_forward_progress 1
		.amdhsa_shared_vgpr_count 0
		.amdhsa_exception_fp_ieee_invalid_op 0
		.amdhsa_exception_fp_denorm_src 0
		.amdhsa_exception_fp_ieee_div_zero 0
		.amdhsa_exception_fp_ieee_overflow 0
		.amdhsa_exception_fp_ieee_underflow 0
		.amdhsa_exception_fp_ieee_inexact 0
		.amdhsa_exception_int_div_zero 0
	.end_amdhsa_kernel
	.section	.text._ZN9rocsparseL22bsrxmvn_general_kernelILj256ELj16EfliDF16_DF16_fEEv20rocsparse_direction_NS_24const_host_device_scalarIT1_EET3_PKS5_PKT2_SA_S7_PKT4_S5_PKT5_S4_PT6_21rocsparse_index_base_b,"axG",@progbits,_ZN9rocsparseL22bsrxmvn_general_kernelILj256ELj16EfliDF16_DF16_fEEv20rocsparse_direction_NS_24const_host_device_scalarIT1_EET3_PKS5_PKT2_SA_S7_PKT4_S5_PKT5_S4_PT6_21rocsparse_index_base_b,comdat
.Lfunc_end58:
	.size	_ZN9rocsparseL22bsrxmvn_general_kernelILj256ELj16EfliDF16_DF16_fEEv20rocsparse_direction_NS_24const_host_device_scalarIT1_EET3_PKS5_PKT2_SA_S7_PKT4_S5_PKT5_S4_PT6_21rocsparse_index_base_b, .Lfunc_end58-_ZN9rocsparseL22bsrxmvn_general_kernelILj256ELj16EfliDF16_DF16_fEEv20rocsparse_direction_NS_24const_host_device_scalarIT1_EET3_PKS5_PKT2_SA_S7_PKT4_S5_PKT5_S4_PT6_21rocsparse_index_base_b
                                        ; -- End function
	.set _ZN9rocsparseL22bsrxmvn_general_kernelILj256ELj16EfliDF16_DF16_fEEv20rocsparse_direction_NS_24const_host_device_scalarIT1_EET3_PKS5_PKT2_SA_S7_PKT4_S5_PKT5_S4_PT6_21rocsparse_index_base_b.num_vgpr, 22
	.set _ZN9rocsparseL22bsrxmvn_general_kernelILj256ELj16EfliDF16_DF16_fEEv20rocsparse_direction_NS_24const_host_device_scalarIT1_EET3_PKS5_PKT2_SA_S7_PKT4_S5_PKT5_S4_PT6_21rocsparse_index_base_b.num_agpr, 0
	.set _ZN9rocsparseL22bsrxmvn_general_kernelILj256ELj16EfliDF16_DF16_fEEv20rocsparse_direction_NS_24const_host_device_scalarIT1_EET3_PKS5_PKT2_SA_S7_PKT4_S5_PKT5_S4_PT6_21rocsparse_index_base_b.numbered_sgpr, 36
	.set _ZN9rocsparseL22bsrxmvn_general_kernelILj256ELj16EfliDF16_DF16_fEEv20rocsparse_direction_NS_24const_host_device_scalarIT1_EET3_PKS5_PKT2_SA_S7_PKT4_S5_PKT5_S4_PT6_21rocsparse_index_base_b.num_named_barrier, 0
	.set _ZN9rocsparseL22bsrxmvn_general_kernelILj256ELj16EfliDF16_DF16_fEEv20rocsparse_direction_NS_24const_host_device_scalarIT1_EET3_PKS5_PKT2_SA_S7_PKT4_S5_PKT5_S4_PT6_21rocsparse_index_base_b.private_seg_size, 0
	.set _ZN9rocsparseL22bsrxmvn_general_kernelILj256ELj16EfliDF16_DF16_fEEv20rocsparse_direction_NS_24const_host_device_scalarIT1_EET3_PKS5_PKT2_SA_S7_PKT4_S5_PKT5_S4_PT6_21rocsparse_index_base_b.uses_vcc, 1
	.set _ZN9rocsparseL22bsrxmvn_general_kernelILj256ELj16EfliDF16_DF16_fEEv20rocsparse_direction_NS_24const_host_device_scalarIT1_EET3_PKS5_PKT2_SA_S7_PKT4_S5_PKT5_S4_PT6_21rocsparse_index_base_b.uses_flat_scratch, 0
	.set _ZN9rocsparseL22bsrxmvn_general_kernelILj256ELj16EfliDF16_DF16_fEEv20rocsparse_direction_NS_24const_host_device_scalarIT1_EET3_PKS5_PKT2_SA_S7_PKT4_S5_PKT5_S4_PT6_21rocsparse_index_base_b.has_dyn_sized_stack, 0
	.set _ZN9rocsparseL22bsrxmvn_general_kernelILj256ELj16EfliDF16_DF16_fEEv20rocsparse_direction_NS_24const_host_device_scalarIT1_EET3_PKS5_PKT2_SA_S7_PKT4_S5_PKT5_S4_PT6_21rocsparse_index_base_b.has_recursion, 0
	.set _ZN9rocsparseL22bsrxmvn_general_kernelILj256ELj16EfliDF16_DF16_fEEv20rocsparse_direction_NS_24const_host_device_scalarIT1_EET3_PKS5_PKT2_SA_S7_PKT4_S5_PKT5_S4_PT6_21rocsparse_index_base_b.has_indirect_call, 0
	.section	.AMDGPU.csdata,"",@progbits
; Kernel info:
; codeLenInByte = 1132
; TotalNumSgprs: 38
; NumVgprs: 22
; ScratchSize: 0
; MemoryBound: 0
; FloatMode: 240
; IeeeMode: 1
; LDSByteSize: 0 bytes/workgroup (compile time only)
; SGPRBlocks: 0
; VGPRBlocks: 2
; NumSGPRsForWavesPerEU: 38
; NumVGPRsForWavesPerEU: 22
; Occupancy: 16
; WaveLimiterHint : 1
; COMPUTE_PGM_RSRC2:SCRATCH_EN: 0
; COMPUTE_PGM_RSRC2:USER_SGPR: 6
; COMPUTE_PGM_RSRC2:TRAP_HANDLER: 0
; COMPUTE_PGM_RSRC2:TGID_X_EN: 1
; COMPUTE_PGM_RSRC2:TGID_Y_EN: 0
; COMPUTE_PGM_RSRC2:TGID_Z_EN: 0
; COMPUTE_PGM_RSRC2:TIDIG_COMP_CNT: 0
	.section	.text._ZN9rocsparseL22bsrxmvn_general_kernelILj1024ELj32EfliDF16_DF16_fEEv20rocsparse_direction_NS_24const_host_device_scalarIT1_EET3_PKS5_PKT2_SA_S7_PKT4_S5_PKT5_S4_PT6_21rocsparse_index_base_b,"axG",@progbits,_ZN9rocsparseL22bsrxmvn_general_kernelILj1024ELj32EfliDF16_DF16_fEEv20rocsparse_direction_NS_24const_host_device_scalarIT1_EET3_PKS5_PKT2_SA_S7_PKT4_S5_PKT5_S4_PT6_21rocsparse_index_base_b,comdat
	.globl	_ZN9rocsparseL22bsrxmvn_general_kernelILj1024ELj32EfliDF16_DF16_fEEv20rocsparse_direction_NS_24const_host_device_scalarIT1_EET3_PKS5_PKT2_SA_S7_PKT4_S5_PKT5_S4_PT6_21rocsparse_index_base_b ; -- Begin function _ZN9rocsparseL22bsrxmvn_general_kernelILj1024ELj32EfliDF16_DF16_fEEv20rocsparse_direction_NS_24const_host_device_scalarIT1_EET3_PKS5_PKT2_SA_S7_PKT4_S5_PKT5_S4_PT6_21rocsparse_index_base_b
	.p2align	8
	.type	_ZN9rocsparseL22bsrxmvn_general_kernelILj1024ELj32EfliDF16_DF16_fEEv20rocsparse_direction_NS_24const_host_device_scalarIT1_EET3_PKS5_PKT2_SA_S7_PKT4_S5_PKT5_S4_PT6_21rocsparse_index_base_b,@function
_ZN9rocsparseL22bsrxmvn_general_kernelILj1024ELj32EfliDF16_DF16_fEEv20rocsparse_direction_NS_24const_host_device_scalarIT1_EET3_PKS5_PKT2_SA_S7_PKT4_S5_PKT5_S4_PT6_21rocsparse_index_base_b: ; @_ZN9rocsparseL22bsrxmvn_general_kernelILj1024ELj32EfliDF16_DF16_fEEv20rocsparse_direction_NS_24const_host_device_scalarIT1_EET3_PKS5_PKT2_SA_S7_PKT4_S5_PKT5_S4_PT6_21rocsparse_index_base_b
; %bb.0:
	s_clause 0x2
	s_load_dwordx2 s[2:3], s[4:5], 0x60
	s_load_dwordx2 s[16:17], s[4:5], 0x8
	;; [unrolled: 1-line block ×3, first 2 shown]
	s_waitcnt lgkmcnt(0)
	s_bitcmp1_b32 s3, 0
	s_cselect_b32 s0, -1, 0
	s_and_b32 vcc_lo, exec_lo, s0
	s_xor_b32 s0, s0, -1
	s_cbranch_vccnz .LBB59_2
; %bb.1:
	s_load_dword s16, s[16:17], 0x0
.LBB59_2:
	s_andn2_b32 vcc_lo, exec_lo, s0
	s_cbranch_vccnz .LBB59_4
; %bb.3:
	s_load_dword s18, s[18:19], 0x0
.LBB59_4:
	s_waitcnt lgkmcnt(0)
	v_cmp_neq_f32_e64 s0, s16, 0
	v_cmp_neq_f32_e64 s1, s18, 1.0
	s_or_b32 s0, s0, s1
	s_andn2_b32 vcc_lo, exec_lo, s0
	s_cbranch_vccnz .LBB59_26
; %bb.5:
	s_load_dwordx2 s[0:1], s[4:5], 0x18
	s_waitcnt lgkmcnt(0)
	s_cmp_eq_u64 s[0:1], 0
	s_cbranch_scc1 .LBB59_7
; %bb.6:
	s_ashr_i32 s7, s6, 31
	s_lshl_b64 s[6:7], s[6:7], 2
	s_add_u32 s0, s0, s6
	s_addc_u32 s1, s1, s7
	s_load_dword s0, s[0:1], 0x0
	s_waitcnt lgkmcnt(0)
	s_sub_i32 s6, s0, s2
.LBB59_7:
	s_load_dword s3, s[4:5], 0x40
	v_lshrrev_b32_e32 v1, 5, v0
	s_mov_b32 s0, exec_lo
	s_waitcnt lgkmcnt(0)
	v_cmpx_gt_i32_e64 s3, v1
	s_cbranch_execz .LBB59_26
; %bb.8:
	s_load_dwordx8 s[8:15], s[4:5], 0x20
	s_ashr_i32 s7, s6, 31
	v_mbcnt_lo_u32_b32 v5, -1, 0
	s_lshl_b64 s[28:29], s[6:7], 3
	s_load_dword s27, s[4:5], 0x0
	s_mul_i32 s26, s6, s3
	v_and_b32_e32 v3, 31, v0
	v_xor_b32_e32 v6, 16, v5
	v_xor_b32_e32 v7, 8, v5
	;; [unrolled: 1-line block ×5, first 2 shown]
	v_cmp_gt_i32_e32 vcc_lo, 32, v6
	v_mov_b32_e32 v2, 0
	s_mul_hi_u32 s19, s3, s3
	s_mul_i32 s24, s3, s3
	v_mul_lo_u32 v0, s3, v1
	v_cndmask_b32_e32 v6, v5, v6, vcc_lo
	v_cmp_gt_i32_e32 vcc_lo, 32, v7
	v_mul_lo_u32 v11, s3, v3
	s_waitcnt lgkmcnt(0)
	s_add_u32 s30, s8, s28
	s_addc_u32 s31, s9, s29
	v_cmp_eq_f32_e64 s25, s18, 0
	s_load_dwordx2 s[22:23], s[30:31], 0x0
	s_clause 0x1
	s_load_dwordx2 s[8:9], s[4:5], 0x58
	s_load_dwordx2 s[20:21], s[4:5], 0x48
	v_cndmask_b32_e32 v7, v5, v7, vcc_lo
	v_cmp_gt_i32_e32 vcc_lo, 32, v8
	v_cmp_gt_u32_e64 s0, s3, v3
	v_cmp_eq_u32_e64 s1, 31, v3
	v_mov_b32_e32 v4, v2
	v_lshlrev_b32_e32 v12, 2, v6
	v_cndmask_b32_e32 v8, v5, v8, vcc_lo
	v_cmp_gt_i32_e32 vcc_lo, 32, v9
	v_lshlrev_b32_e32 v13, 2, v7
	s_mov_b32 s17, 0
	v_lshlrev_b32_e32 v14, 2, v8
	v_cndmask_b32_e32 v9, v5, v9, vcc_lo
	v_cmp_gt_i32_e32 vcc_lo, 32, v10
	v_lshlrev_b32_e32 v15, 2, v9
	s_waitcnt lgkmcnt(0)
	s_sub_u32 s4, s22, s2
	s_subb_u32 s5, s23, 0
	s_add_u32 s6, s30, 8
	s_addc_u32 s7, s31, 0
	s_add_u32 s28, s10, s28
	s_addc_u32 s29, s11, s29
	s_cmp_eq_u64 s[10:11], 0
	v_cndmask_b32_e32 v5, v5, v10, vcc_lo
	s_cselect_b32 s7, s7, s29
	s_cselect_b32 s6, s6, s28
	s_mul_i32 s28, s4, s19
	s_load_dwordx2 s[10:11], s[6:7], 0x0
	s_mul_hi_u32 s29, s4, s24
	v_lshlrev_b32_e32 v16, 2, v5
	s_mul_i32 s30, s5, s24
	s_waitcnt lgkmcnt(0)
	s_sub_u32 s6, s10, s2
	s_subb_u32 s7, s11, 0
	s_cmp_lg_u32 s27, 0
	v_cmp_lt_i64_e64 s22, s[22:23], s[10:11]
	s_cselect_b32 s23, -1, 0
	s_add_i32 s10, s29, s28
	s_mul_i32 s27, s4, s24
	s_add_i32 s28, s10, s30
	s_lshl_b32 s29, s3, 5
	s_branch .LBB59_10
.LBB59_9:                               ;   in Loop: Header=BB59_10 Depth=1
	s_or_b32 exec_lo, exec_lo, s10
	v_add_nc_u32_e32 v1, 32, v1
	v_add_nc_u32_e32 v0, s29, v0
	v_cmp_le_i32_e32 vcc_lo, s3, v1
	s_or_b32 s17, vcc_lo, s17
	s_andn2_b32 exec_lo, exec_lo, s17
	s_cbranch_execz .LBB59_26
.LBB59_10:                              ; =>This Loop Header: Depth=1
                                        ;     Child Loop BB59_14 Depth 2
                                        ;       Child Loop BB59_17 Depth 3
	v_mov_b32_e32 v17, 0
	s_andn2_b32 vcc_lo, exec_lo, s22
	s_cbranch_vccnz .LBB59_21
; %bb.11:                               ;   in Loop: Header=BB59_10 Depth=1
	v_ashrrev_i32_e32 v5, 31, v0
	v_add_co_u32 v18, vcc_lo, s27, v0
	v_mov_b32_e32 v17, 0
	s_mov_b64 s[10:11], s[4:5]
	v_add_co_ci_u32_e64 v19, null, s28, v5, vcc_lo
	s_branch .LBB59_14
.LBB59_12:                              ;   in Loop: Header=BB59_14 Depth=2
	s_inst_prefetch 0x2
	s_or_b32 exec_lo, exec_lo, s31
.LBB59_13:                              ;   in Loop: Header=BB59_14 Depth=2
	s_or_b32 exec_lo, exec_lo, s30
	s_add_u32 s10, s10, 1
	s_addc_u32 s11, s11, 0
	v_add_co_u32 v18, vcc_lo, v18, s24
	v_cmp_ge_i64_e64 s30, s[10:11], s[6:7]
	v_add_co_ci_u32_e64 v19, null, s19, v19, vcc_lo
	s_and_b32 vcc_lo, exec_lo, s30
	s_cbranch_vccnz .LBB59_21
.LBB59_14:                              ;   Parent Loop BB59_10 Depth=1
                                        ; =>  This Loop Header: Depth=2
                                        ;       Child Loop BB59_17 Depth 3
	s_and_saveexec_b32 s30, s0
	s_cbranch_execz .LBB59_13
; %bb.15:                               ;   in Loop: Header=BB59_14 Depth=2
	s_lshl_b64 s[34:35], s[10:11], 2
	s_waitcnt lgkmcnt(0)
	v_mad_u64_u32 v[5:6], null, s24, s10, v[1:2]
	s_add_u32 s34, s12, s34
	s_addc_u32 s35, s13, s35
	s_mul_i32 s33, s19, s10
	s_load_dword s31, s[34:35], 0x0
	s_mul_i32 s34, s24, s11
	v_mov_b32_e32 v8, v4
	v_mov_b32_e32 v20, v11
	;; [unrolled: 1-line block ×3, first 2 shown]
	v_add3_u32 v6, s34, s33, v6
	s_waitcnt lgkmcnt(0)
	s_sub_i32 s31, s31, s2
	s_mul_i32 s33, s31, s3
	s_mov_b32 s31, 0
	s_inst_prefetch 0x1
	s_branch .LBB59_17
	.p2align	6
.LBB59_16:                              ;   in Loop: Header=BB59_17 Depth=3
	v_add_nc_u32_e32 v21, s33, v7
	v_lshlrev_b64 v[9:10], 1, v[9:10]
	v_add_nc_u32_e32 v20, s29, v20
	v_ashrrev_i32_e32 v22, 31, v21
	v_add_co_u32 v9, vcc_lo, s14, v9
	v_add_co_ci_u32_e64 v10, null, s15, v10, vcc_lo
	v_lshlrev_b64 v[21:22], 1, v[21:22]
	v_add_co_u32 v21, vcc_lo, s20, v21
	v_add_co_ci_u32_e64 v22, null, s21, v22, vcc_lo
	v_add_co_u32 v7, vcc_lo, v7, 32
	global_load_ushort v9, v[9:10], off
	global_load_ushort v10, v[21:22], off
	v_add_co_ci_u32_e64 v8, null, 0, v8, vcc_lo
	v_cmp_le_i32_e32 vcc_lo, s3, v7
	s_or_b32 s31, vcc_lo, s31
	s_waitcnt vmcnt(0)
	v_fma_mix_f32 v17, v9, v10, v17 op_sel_hi:[1,1,0]
	s_andn2_b32 exec_lo, exec_lo, s31
	s_cbranch_execz .LBB59_12
.LBB59_17:                              ;   Parent Loop BB59_10 Depth=1
                                        ;     Parent Loop BB59_14 Depth=2
                                        ; =>    This Inner Loop Header: Depth=3
	s_and_b32 vcc_lo, exec_lo, s23
	s_cbranch_vccz .LBB59_19
; %bb.18:                               ;   in Loop: Header=BB59_17 Depth=3
	v_ashrrev_i32_e32 v10, 31, v20
	v_add_co_u32 v9, vcc_lo, v5, v20
	v_add_co_ci_u32_e64 v10, null, v6, v10, vcc_lo
	s_cbranch_execnz .LBB59_16
	s_branch .LBB59_20
.LBB59_19:                              ;   in Loop: Header=BB59_17 Depth=3
                                        ; implicit-def: $vgpr9_vgpr10
.LBB59_20:                              ;   in Loop: Header=BB59_17 Depth=3
	v_add_co_u32 v9, vcc_lo, v18, v7
	v_add_co_ci_u32_e64 v10, null, v19, v8, vcc_lo
	s_branch .LBB59_16
.LBB59_21:                              ;   in Loop: Header=BB59_10 Depth=1
	ds_bpermute_b32 v5, v12, v17
	s_waitcnt lgkmcnt(0)
	v_add_f32_e32 v5, v17, v5
	ds_bpermute_b32 v6, v13, v5
	s_waitcnt lgkmcnt(0)
	v_add_f32_e32 v5, v5, v6
	;; [unrolled: 3-line block ×4, first 2 shown]
	ds_bpermute_b32 v6, v16, v5
	s_and_saveexec_b32 s10, s1
	s_cbranch_execz .LBB59_9
; %bb.22:                               ;   in Loop: Header=BB59_10 Depth=1
	s_waitcnt lgkmcnt(0)
	v_add_f32_e32 v6, v5, v6
	v_add_nc_u32_e32 v5, s26, v1
	s_and_b32 vcc_lo, exec_lo, s25
	v_mul_f32_e32 v7, s16, v6
	v_ashrrev_i32_e32 v6, 31, v5
	s_cbranch_vccz .LBB59_24
; %bb.23:                               ;   in Loop: Header=BB59_10 Depth=1
	v_lshlrev_b64 v[8:9], 2, v[5:6]
	v_add_co_u32 v8, vcc_lo, s8, v8
	v_add_co_ci_u32_e64 v9, null, s9, v9, vcc_lo
	global_store_dword v[8:9], v7, off
	s_cbranch_execnz .LBB59_9
	s_branch .LBB59_25
.LBB59_24:                              ;   in Loop: Header=BB59_10 Depth=1
.LBB59_25:                              ;   in Loop: Header=BB59_10 Depth=1
	v_lshlrev_b64 v[5:6], 2, v[5:6]
	v_add_co_u32 v5, vcc_lo, s8, v5
	v_add_co_ci_u32_e64 v6, null, s9, v6, vcc_lo
	global_load_dword v8, v[5:6], off
	s_waitcnt vmcnt(0)
	v_fmac_f32_e32 v7, s18, v8
	global_store_dword v[5:6], v7, off
	s_branch .LBB59_9
.LBB59_26:
	s_endpgm
	.section	.rodata,"a",@progbits
	.p2align	6, 0x0
	.amdhsa_kernel _ZN9rocsparseL22bsrxmvn_general_kernelILj1024ELj32EfliDF16_DF16_fEEv20rocsparse_direction_NS_24const_host_device_scalarIT1_EET3_PKS5_PKT2_SA_S7_PKT4_S5_PKT5_S4_PT6_21rocsparse_index_base_b
		.amdhsa_group_segment_fixed_size 0
		.amdhsa_private_segment_fixed_size 0
		.amdhsa_kernarg_size 104
		.amdhsa_user_sgpr_count 6
		.amdhsa_user_sgpr_private_segment_buffer 1
		.amdhsa_user_sgpr_dispatch_ptr 0
		.amdhsa_user_sgpr_queue_ptr 0
		.amdhsa_user_sgpr_kernarg_segment_ptr 1
		.amdhsa_user_sgpr_dispatch_id 0
		.amdhsa_user_sgpr_flat_scratch_init 0
		.amdhsa_user_sgpr_private_segment_size 0
		.amdhsa_wavefront_size32 1
		.amdhsa_uses_dynamic_stack 0
		.amdhsa_system_sgpr_private_segment_wavefront_offset 0
		.amdhsa_system_sgpr_workgroup_id_x 1
		.amdhsa_system_sgpr_workgroup_id_y 0
		.amdhsa_system_sgpr_workgroup_id_z 0
		.amdhsa_system_sgpr_workgroup_info 0
		.amdhsa_system_vgpr_workitem_id 0
		.amdhsa_next_free_vgpr 23
		.amdhsa_next_free_sgpr 36
		.amdhsa_reserve_vcc 1
		.amdhsa_reserve_flat_scratch 0
		.amdhsa_float_round_mode_32 0
		.amdhsa_float_round_mode_16_64 0
		.amdhsa_float_denorm_mode_32 3
		.amdhsa_float_denorm_mode_16_64 3
		.amdhsa_dx10_clamp 1
		.amdhsa_ieee_mode 1
		.amdhsa_fp16_overflow 0
		.amdhsa_workgroup_processor_mode 1
		.amdhsa_memory_ordered 1
		.amdhsa_forward_progress 1
		.amdhsa_shared_vgpr_count 0
		.amdhsa_exception_fp_ieee_invalid_op 0
		.amdhsa_exception_fp_denorm_src 0
		.amdhsa_exception_fp_ieee_div_zero 0
		.amdhsa_exception_fp_ieee_overflow 0
		.amdhsa_exception_fp_ieee_underflow 0
		.amdhsa_exception_fp_ieee_inexact 0
		.amdhsa_exception_int_div_zero 0
	.end_amdhsa_kernel
	.section	.text._ZN9rocsparseL22bsrxmvn_general_kernelILj1024ELj32EfliDF16_DF16_fEEv20rocsparse_direction_NS_24const_host_device_scalarIT1_EET3_PKS5_PKT2_SA_S7_PKT4_S5_PKT5_S4_PT6_21rocsparse_index_base_b,"axG",@progbits,_ZN9rocsparseL22bsrxmvn_general_kernelILj1024ELj32EfliDF16_DF16_fEEv20rocsparse_direction_NS_24const_host_device_scalarIT1_EET3_PKS5_PKT2_SA_S7_PKT4_S5_PKT5_S4_PT6_21rocsparse_index_base_b,comdat
.Lfunc_end59:
	.size	_ZN9rocsparseL22bsrxmvn_general_kernelILj1024ELj32EfliDF16_DF16_fEEv20rocsparse_direction_NS_24const_host_device_scalarIT1_EET3_PKS5_PKT2_SA_S7_PKT4_S5_PKT5_S4_PT6_21rocsparse_index_base_b, .Lfunc_end59-_ZN9rocsparseL22bsrxmvn_general_kernelILj1024ELj32EfliDF16_DF16_fEEv20rocsparse_direction_NS_24const_host_device_scalarIT1_EET3_PKS5_PKT2_SA_S7_PKT4_S5_PKT5_S4_PT6_21rocsparse_index_base_b
                                        ; -- End function
	.set _ZN9rocsparseL22bsrxmvn_general_kernelILj1024ELj32EfliDF16_DF16_fEEv20rocsparse_direction_NS_24const_host_device_scalarIT1_EET3_PKS5_PKT2_SA_S7_PKT4_S5_PKT5_S4_PT6_21rocsparse_index_base_b.num_vgpr, 23
	.set _ZN9rocsparseL22bsrxmvn_general_kernelILj1024ELj32EfliDF16_DF16_fEEv20rocsparse_direction_NS_24const_host_device_scalarIT1_EET3_PKS5_PKT2_SA_S7_PKT4_S5_PKT5_S4_PT6_21rocsparse_index_base_b.num_agpr, 0
	.set _ZN9rocsparseL22bsrxmvn_general_kernelILj1024ELj32EfliDF16_DF16_fEEv20rocsparse_direction_NS_24const_host_device_scalarIT1_EET3_PKS5_PKT2_SA_S7_PKT4_S5_PKT5_S4_PT6_21rocsparse_index_base_b.numbered_sgpr, 36
	.set _ZN9rocsparseL22bsrxmvn_general_kernelILj1024ELj32EfliDF16_DF16_fEEv20rocsparse_direction_NS_24const_host_device_scalarIT1_EET3_PKS5_PKT2_SA_S7_PKT4_S5_PKT5_S4_PT6_21rocsparse_index_base_b.num_named_barrier, 0
	.set _ZN9rocsparseL22bsrxmvn_general_kernelILj1024ELj32EfliDF16_DF16_fEEv20rocsparse_direction_NS_24const_host_device_scalarIT1_EET3_PKS5_PKT2_SA_S7_PKT4_S5_PKT5_S4_PT6_21rocsparse_index_base_b.private_seg_size, 0
	.set _ZN9rocsparseL22bsrxmvn_general_kernelILj1024ELj32EfliDF16_DF16_fEEv20rocsparse_direction_NS_24const_host_device_scalarIT1_EET3_PKS5_PKT2_SA_S7_PKT4_S5_PKT5_S4_PT6_21rocsparse_index_base_b.uses_vcc, 1
	.set _ZN9rocsparseL22bsrxmvn_general_kernelILj1024ELj32EfliDF16_DF16_fEEv20rocsparse_direction_NS_24const_host_device_scalarIT1_EET3_PKS5_PKT2_SA_S7_PKT4_S5_PKT5_S4_PT6_21rocsparse_index_base_b.uses_flat_scratch, 0
	.set _ZN9rocsparseL22bsrxmvn_general_kernelILj1024ELj32EfliDF16_DF16_fEEv20rocsparse_direction_NS_24const_host_device_scalarIT1_EET3_PKS5_PKT2_SA_S7_PKT4_S5_PKT5_S4_PT6_21rocsparse_index_base_b.has_dyn_sized_stack, 0
	.set _ZN9rocsparseL22bsrxmvn_general_kernelILj1024ELj32EfliDF16_DF16_fEEv20rocsparse_direction_NS_24const_host_device_scalarIT1_EET3_PKS5_PKT2_SA_S7_PKT4_S5_PKT5_S4_PT6_21rocsparse_index_base_b.has_recursion, 0
	.set _ZN9rocsparseL22bsrxmvn_general_kernelILj1024ELj32EfliDF16_DF16_fEEv20rocsparse_direction_NS_24const_host_device_scalarIT1_EET3_PKS5_PKT2_SA_S7_PKT4_S5_PKT5_S4_PT6_21rocsparse_index_base_b.has_indirect_call, 0
	.section	.AMDGPU.csdata,"",@progbits
; Kernel info:
; codeLenInByte = 1148
; TotalNumSgprs: 38
; NumVgprs: 23
; ScratchSize: 0
; MemoryBound: 0
; FloatMode: 240
; IeeeMode: 1
; LDSByteSize: 0 bytes/workgroup (compile time only)
; SGPRBlocks: 0
; VGPRBlocks: 2
; NumSGPRsForWavesPerEU: 38
; NumVGPRsForWavesPerEU: 23
; Occupancy: 16
; WaveLimiterHint : 1
; COMPUTE_PGM_RSRC2:SCRATCH_EN: 0
; COMPUTE_PGM_RSRC2:USER_SGPR: 6
; COMPUTE_PGM_RSRC2:TRAP_HANDLER: 0
; COMPUTE_PGM_RSRC2:TGID_X_EN: 1
; COMPUTE_PGM_RSRC2:TGID_Y_EN: 0
; COMPUTE_PGM_RSRC2:TGID_Z_EN: 0
; COMPUTE_PGM_RSRC2:TIDIG_COMP_CNT: 0
	.section	.text._ZN9rocsparseL22bsrxmvn_general_kernelILj64ELj8EfllDF16_DF16_fEEv20rocsparse_direction_NS_24const_host_device_scalarIT1_EET3_PKS5_PKT2_SA_S7_PKT4_S5_PKT5_S4_PT6_21rocsparse_index_base_b,"axG",@progbits,_ZN9rocsparseL22bsrxmvn_general_kernelILj64ELj8EfllDF16_DF16_fEEv20rocsparse_direction_NS_24const_host_device_scalarIT1_EET3_PKS5_PKT2_SA_S7_PKT4_S5_PKT5_S4_PT6_21rocsparse_index_base_b,comdat
	.globl	_ZN9rocsparseL22bsrxmvn_general_kernelILj64ELj8EfllDF16_DF16_fEEv20rocsparse_direction_NS_24const_host_device_scalarIT1_EET3_PKS5_PKT2_SA_S7_PKT4_S5_PKT5_S4_PT6_21rocsparse_index_base_b ; -- Begin function _ZN9rocsparseL22bsrxmvn_general_kernelILj64ELj8EfllDF16_DF16_fEEv20rocsparse_direction_NS_24const_host_device_scalarIT1_EET3_PKS5_PKT2_SA_S7_PKT4_S5_PKT5_S4_PT6_21rocsparse_index_base_b
	.p2align	8
	.type	_ZN9rocsparseL22bsrxmvn_general_kernelILj64ELj8EfllDF16_DF16_fEEv20rocsparse_direction_NS_24const_host_device_scalarIT1_EET3_PKS5_PKT2_SA_S7_PKT4_S5_PKT5_S4_PT6_21rocsparse_index_base_b,@function
_ZN9rocsparseL22bsrxmvn_general_kernelILj64ELj8EfllDF16_DF16_fEEv20rocsparse_direction_NS_24const_host_device_scalarIT1_EET3_PKS5_PKT2_SA_S7_PKT4_S5_PKT5_S4_PT6_21rocsparse_index_base_b: ; @_ZN9rocsparseL22bsrxmvn_general_kernelILj64ELj8EfllDF16_DF16_fEEv20rocsparse_direction_NS_24const_host_device_scalarIT1_EET3_PKS5_PKT2_SA_S7_PKT4_S5_PKT5_S4_PT6_21rocsparse_index_base_b
; %bb.0:
	s_clause 0x2
	s_load_dwordx2 s[16:17], s[4:5], 0x60
	s_load_dwordx2 s[18:19], s[4:5], 0x8
	;; [unrolled: 1-line block ×3, first 2 shown]
	s_waitcnt lgkmcnt(0)
	s_bitcmp1_b32 s17, 0
	s_cselect_b32 s0, -1, 0
	s_and_b32 vcc_lo, exec_lo, s0
	s_xor_b32 s0, s0, -1
	s_cbranch_vccnz .LBB60_2
; %bb.1:
	s_load_dword s18, s[18:19], 0x0
.LBB60_2:
	s_andn2_b32 vcc_lo, exec_lo, s0
	s_cbranch_vccnz .LBB60_4
; %bb.3:
	s_load_dword s20, s[20:21], 0x0
.LBB60_4:
	s_waitcnt lgkmcnt(0)
	v_cmp_neq_f32_e64 s0, s18, 0
	v_cmp_neq_f32_e64 s1, s20, 1.0
	s_mov_b32 s7, 0
	s_or_b32 s0, s0, s1
	s_andn2_b32 vcc_lo, exec_lo, s0
	s_cbranch_vccnz .LBB60_26
; %bb.5:
	s_load_dwordx2 s[0:1], s[4:5], 0x18
	s_waitcnt lgkmcnt(0)
	s_cmp_eq_u64 s[0:1], 0
	s_cbranch_scc1 .LBB60_7
; %bb.6:
	s_lshl_b64 s[2:3], s[6:7], 3
	s_add_u32 s0, s0, s2
	s_addc_u32 s1, s1, s3
	s_load_dwordx2 s[0:1], s[0:1], 0x0
	s_waitcnt lgkmcnt(0)
	s_sub_u32 s6, s0, s16
	s_subb_u32 s7, s1, 0
.LBB60_7:
	s_load_dwordx2 s[22:23], s[4:5], 0x40
	v_lshrrev_b32_e32 v1, 3, v0
	v_mov_b32_e32 v2, 0
	s_mov_b32 s0, exec_lo
	s_waitcnt lgkmcnt(0)
	v_cmpx_gt_i64_e64 s[22:23], v[1:2]
	s_cbranch_execz .LBB60_26
; %bb.8:
	s_load_dwordx8 s[8:15], s[4:5], 0x20
	s_lshl_b64 s[26:27], s[6:7], 3
	v_and_b32_e32 v3, 7, v0
	v_mbcnt_lo_u32_b32 v0, -1, 0
	s_load_dword s21, s[4:5], 0x0
	s_mul_i32 s31, s6, s23
	s_mul_hi_u32 s33, s6, s22
	s_mul_i32 s30, s6, s22
	v_xor_b32_e32 v5, 4, v0
	s_mul_i32 s34, s7, s22
	v_xor_b32_e32 v6, 2, v0
	v_xor_b32_e32 v7, 1, v0
	v_lshlrev_b32_e32 v8, 1, v3
	v_cmp_gt_i32_e32 vcc_lo, 32, v5
	v_mov_b32_e32 v4, v2
	s_mul_i32 s35, s22, s23
	s_mul_hi_u32 s36, s22, s22
	v_cmp_eq_f32_e64 s19, s20, 0
	v_cndmask_b32_e32 v9, v0, v5, vcc_lo
	v_cmp_gt_i32_e32 vcc_lo, 32, v6
	s_waitcnt lgkmcnt(0)
	s_add_u32 s28, s8, s26
	s_addc_u32 s29, s9, s27
	v_cmp_gt_u64_e64 s0, s[22:23], v[3:4]
	s_load_dwordx2 s[8:9], s[28:29], 0x0
	s_clause 0x1
	s_load_dwordx2 s[2:3], s[4:5], 0x58
	s_load_dwordx2 s[24:25], s[4:5], 0x48
	v_cndmask_b32_e32 v10, v0, v6, vcc_lo
	v_cmp_gt_i32_e32 vcc_lo, 32, v7
	s_mov_b32 s17, 0
	v_lshlrev_b32_e32 v17, 2, v10
	v_cndmask_b32_e32 v7, v0, v7, vcc_lo
	v_lshlrev_b32_e32 v0, 2, v9
	v_lshlrev_b32_e32 v18, 2, v7
	s_waitcnt lgkmcnt(0)
	s_sub_u32 s4, s8, s16
	s_subb_u32 s5, s9, 0
	s_add_u32 s1, s28, 8
	s_addc_u32 s6, s29, 0
	s_add_u32 s26, s10, s26
	s_addc_u32 s7, s11, s27
	s_cmp_eq_u64 s[10:11], 0
	v_mad_u64_u32 v[5:6], null, s22, s4, v[1:2]
	s_cselect_b32 s7, s6, s7
	s_cselect_b32 s6, s1, s26
	v_cmp_eq_u32_e64 s1, 7, v3
	s_load_dwordx2 s[10:11], s[6:7], 0x0
	s_mul_i32 s6, s23, s4
	s_mul_i32 s7, s22, s5
	v_mul_lo_u32 v9, s23, v5
	v_add3_u32 v7, s7, s6, v6
	v_mad_u64_u32 v[5:6], null, s22, v5, 0
	s_mul_i32 s29, s22, s22
	v_mul_lo_u32 v10, s22, v7
	v_add_co_u32 v7, s24, s24, v8
	v_add_co_ci_u32_e64 v8, null, s25, 0, s24
	v_add3_u32 v6, v6, v10, v9
	s_waitcnt lgkmcnt(0)
	s_sub_u32 s6, s10, s16
	s_subb_u32 s7, s11, 0
	s_cmp_lg_u32 s21, 0
	s_cselect_b32 s21, -1, 0
	s_add_i32 s26, s33, s31
	s_add_i32 s31, s26, s34
	v_cmp_lt_i64_e64 s26, s[8:9], s[10:11]
	s_lshl_b64 s[24:25], s[30:31], 2
	s_add_u32 s27, s2, s24
	s_addc_u32 s3, s3, s25
	s_add_i32 s2, s36, s35
	s_lshl_b64 s[8:9], s[22:23], 1
	s_lshl_b64 s[10:11], s[22:23], 3
	s_add_i32 s28, s2, s35
	s_branch .LBB60_10
.LBB60_9:                               ;   in Loop: Header=BB60_10 Depth=1
	s_or_b32 exec_lo, exec_lo, s2
	v_add_co_u32 v1, vcc_lo, v1, 8
	v_add_co_ci_u32_e64 v2, null, 0, v2, vcc_lo
	v_add_co_u32 v5, s2, v5, s10
	v_add_co_ci_u32_e64 v6, null, s11, v6, s2
	v_cmp_le_i64_e32 vcc_lo, s[22:23], v[1:2]
	s_or_b32 s17, vcc_lo, s17
	s_andn2_b32 exec_lo, exec_lo, s17
	s_cbranch_execz .LBB60_26
.LBB60_10:                              ; =>This Loop Header: Depth=1
                                        ;     Child Loop BB60_14 Depth 2
                                        ;       Child Loop BB60_17 Depth 3
	v_mov_b32_e32 v19, 0
	s_andn2_b32 vcc_lo, exec_lo, s26
	s_cbranch_vccnz .LBB60_21
; %bb.11:                               ;   in Loop: Header=BB60_10 Depth=1
	s_waitcnt lgkmcnt(0)
	v_mov_b32_e32 v10, v6
	v_mov_b32_e32 v19, 0
	;; [unrolled: 1-line block ×3, first 2 shown]
	s_mov_b64 s[24:25], s[4:5]
	s_branch .LBB60_14
.LBB60_12:                              ;   in Loop: Header=BB60_14 Depth=2
	s_or_b32 exec_lo, exec_lo, s33
.LBB60_13:                              ;   in Loop: Header=BB60_14 Depth=2
	s_or_b32 exec_lo, exec_lo, s30
	s_add_u32 s24, s24, 1
	s_addc_u32 s25, s25, 0
	v_add_co_u32 v9, vcc_lo, v9, s29
	v_cmp_ge_i64_e64 s2, s[24:25], s[6:7]
	v_add_co_ci_u32_e64 v10, null, s28, v10, vcc_lo
	s_and_b32 vcc_lo, exec_lo, s2
	s_cbranch_vccnz .LBB60_21
.LBB60_14:                              ;   Parent Loop BB60_10 Depth=1
                                        ; =>  This Loop Header: Depth=2
                                        ;       Child Loop BB60_17 Depth 3
	s_and_saveexec_b32 s30, s0
	s_cbranch_execz .LBB60_13
; %bb.15:                               ;   in Loop: Header=BB60_14 Depth=2
	s_lshl_b64 s[34:35], s[24:25], 3
	s_mul_i32 s31, s24, s23
	s_add_u32 s34, s12, s34
	s_addc_u32 s35, s13, s35
	s_mul_hi_u32 s33, s24, s22
	s_load_dwordx2 s[34:35], s[34:35], 0x0
	v_mov_b32_e32 v14, v4
	v_mov_b32_e32 v13, v3
	s_waitcnt lgkmcnt(0)
	s_sub_u32 s2, s34, s16
	s_subb_u32 s35, s35, 0
	v_mad_u64_u32 v[11:12], null, s8, s2, v[7:8]
	s_mul_i32 s2, s9, s2
	s_mul_i32 s35, s8, s35
	;; [unrolled: 1-line block ×3, first 2 shown]
	s_add_i32 s31, s33, s31
	s_mov_b32 s33, 0
	s_add_i32 s31, s31, s34
	v_add3_u32 v12, s35, s2, v12
	s_mul_i32 s34, s24, s22
	s_branch .LBB60_17
.LBB60_16:                              ;   in Loop: Header=BB60_17 Depth=3
	v_lshlrev_b64 v[15:16], 1, v[15:16]
	v_add_co_u32 v15, vcc_lo, s14, v15
	v_add_co_ci_u32_e64 v16, null, s15, v16, vcc_lo
	v_add_co_u32 v13, vcc_lo, v13, 8
	global_load_ushort v20, v[11:12], off
	global_load_ushort v15, v[15:16], off
	v_add_co_ci_u32_e64 v14, null, 0, v14, vcc_lo
	v_add_co_u32 v11, s2, v11, 16
	v_add_co_ci_u32_e64 v12, null, 0, v12, s2
	v_cmp_le_i64_e32 vcc_lo, s[22:23], v[13:14]
	s_or_b32 s33, vcc_lo, s33
	s_waitcnt vmcnt(0)
	v_fma_mix_f32 v19, v15, v20, v19 op_sel_hi:[1,1,0]
	s_andn2_b32 exec_lo, exec_lo, s33
	s_cbranch_execz .LBB60_12
.LBB60_17:                              ;   Parent Loop BB60_10 Depth=1
                                        ;     Parent Loop BB60_14 Depth=2
                                        ; =>    This Inner Loop Header: Depth=3
	s_and_b32 vcc_lo, exec_lo, s21
	s_cbranch_vccz .LBB60_19
; %bb.18:                               ;   in Loop: Header=BB60_17 Depth=3
	v_add_co_u32 v15, vcc_lo, v13, s34
	v_add_co_ci_u32_e64 v16, null, s31, v14, vcc_lo
	v_mul_lo_u32 v20, v15, s23
	v_mul_lo_u32 v21, v16, s22
	v_mad_u64_u32 v[15:16], null, v15, s22, v[1:2]
	v_add3_u32 v16, v21, v16, v20
	s_cbranch_execnz .LBB60_16
	s_branch .LBB60_20
.LBB60_19:                              ;   in Loop: Header=BB60_17 Depth=3
                                        ; implicit-def: $vgpr15_vgpr16
.LBB60_20:                              ;   in Loop: Header=BB60_17 Depth=3
	v_add_co_u32 v15, vcc_lo, v9, v13
	v_add_co_ci_u32_e64 v16, null, v10, v14, vcc_lo
	s_branch .LBB60_16
.LBB60_21:                              ;   in Loop: Header=BB60_10 Depth=1
	ds_bpermute_b32 v9, v0, v19
	s_waitcnt lgkmcnt(0)
	v_add_f32_e32 v9, v19, v9
	ds_bpermute_b32 v10, v17, v9
	s_waitcnt lgkmcnt(0)
	v_add_f32_e32 v9, v9, v10
	ds_bpermute_b32 v10, v18, v9
	s_and_saveexec_b32 s2, s1
	s_cbranch_execz .LBB60_9
; %bb.22:                               ;   in Loop: Header=BB60_10 Depth=1
	s_waitcnt lgkmcnt(0)
	v_add_f32_e32 v11, v9, v10
	v_lshlrev_b64 v[9:10], 2, v[1:2]
	s_and_b32 vcc_lo, exec_lo, s19
	v_mul_f32_e32 v11, s18, v11
	s_cbranch_vccz .LBB60_24
; %bb.23:                               ;   in Loop: Header=BB60_10 Depth=1
	v_add_co_u32 v12, vcc_lo, s27, v9
	v_add_co_ci_u32_e64 v13, null, s3, v10, vcc_lo
	global_store_dword v[12:13], v11, off
	s_cbranch_execnz .LBB60_9
	s_branch .LBB60_25
.LBB60_24:                              ;   in Loop: Header=BB60_10 Depth=1
.LBB60_25:                              ;   in Loop: Header=BB60_10 Depth=1
	v_add_co_u32 v9, vcc_lo, s27, v9
	v_add_co_ci_u32_e64 v10, null, s3, v10, vcc_lo
	global_load_dword v12, v[9:10], off
	s_waitcnt vmcnt(0)
	v_fmac_f32_e32 v11, s20, v12
	global_store_dword v[9:10], v11, off
	s_branch .LBB60_9
.LBB60_26:
	s_endpgm
	.section	.rodata,"a",@progbits
	.p2align	6, 0x0
	.amdhsa_kernel _ZN9rocsparseL22bsrxmvn_general_kernelILj64ELj8EfllDF16_DF16_fEEv20rocsparse_direction_NS_24const_host_device_scalarIT1_EET3_PKS5_PKT2_SA_S7_PKT4_S5_PKT5_S4_PT6_21rocsparse_index_base_b
		.amdhsa_group_segment_fixed_size 0
		.amdhsa_private_segment_fixed_size 0
		.amdhsa_kernarg_size 104
		.amdhsa_user_sgpr_count 6
		.amdhsa_user_sgpr_private_segment_buffer 1
		.amdhsa_user_sgpr_dispatch_ptr 0
		.amdhsa_user_sgpr_queue_ptr 0
		.amdhsa_user_sgpr_kernarg_segment_ptr 1
		.amdhsa_user_sgpr_dispatch_id 0
		.amdhsa_user_sgpr_flat_scratch_init 0
		.amdhsa_user_sgpr_private_segment_size 0
		.amdhsa_wavefront_size32 1
		.amdhsa_uses_dynamic_stack 0
		.amdhsa_system_sgpr_private_segment_wavefront_offset 0
		.amdhsa_system_sgpr_workgroup_id_x 1
		.amdhsa_system_sgpr_workgroup_id_y 0
		.amdhsa_system_sgpr_workgroup_id_z 0
		.amdhsa_system_sgpr_workgroup_info 0
		.amdhsa_system_vgpr_workitem_id 0
		.amdhsa_next_free_vgpr 22
		.amdhsa_next_free_sgpr 37
		.amdhsa_reserve_vcc 1
		.amdhsa_reserve_flat_scratch 0
		.amdhsa_float_round_mode_32 0
		.amdhsa_float_round_mode_16_64 0
		.amdhsa_float_denorm_mode_32 3
		.amdhsa_float_denorm_mode_16_64 3
		.amdhsa_dx10_clamp 1
		.amdhsa_ieee_mode 1
		.amdhsa_fp16_overflow 0
		.amdhsa_workgroup_processor_mode 1
		.amdhsa_memory_ordered 1
		.amdhsa_forward_progress 1
		.amdhsa_shared_vgpr_count 0
		.amdhsa_exception_fp_ieee_invalid_op 0
		.amdhsa_exception_fp_denorm_src 0
		.amdhsa_exception_fp_ieee_div_zero 0
		.amdhsa_exception_fp_ieee_overflow 0
		.amdhsa_exception_fp_ieee_underflow 0
		.amdhsa_exception_fp_ieee_inexact 0
		.amdhsa_exception_int_div_zero 0
	.end_amdhsa_kernel
	.section	.text._ZN9rocsparseL22bsrxmvn_general_kernelILj64ELj8EfllDF16_DF16_fEEv20rocsparse_direction_NS_24const_host_device_scalarIT1_EET3_PKS5_PKT2_SA_S7_PKT4_S5_PKT5_S4_PT6_21rocsparse_index_base_b,"axG",@progbits,_ZN9rocsparseL22bsrxmvn_general_kernelILj64ELj8EfllDF16_DF16_fEEv20rocsparse_direction_NS_24const_host_device_scalarIT1_EET3_PKS5_PKT2_SA_S7_PKT4_S5_PKT5_S4_PT6_21rocsparse_index_base_b,comdat
.Lfunc_end60:
	.size	_ZN9rocsparseL22bsrxmvn_general_kernelILj64ELj8EfllDF16_DF16_fEEv20rocsparse_direction_NS_24const_host_device_scalarIT1_EET3_PKS5_PKT2_SA_S7_PKT4_S5_PKT5_S4_PT6_21rocsparse_index_base_b, .Lfunc_end60-_ZN9rocsparseL22bsrxmvn_general_kernelILj64ELj8EfllDF16_DF16_fEEv20rocsparse_direction_NS_24const_host_device_scalarIT1_EET3_PKS5_PKT2_SA_S7_PKT4_S5_PKT5_S4_PT6_21rocsparse_index_base_b
                                        ; -- End function
	.set _ZN9rocsparseL22bsrxmvn_general_kernelILj64ELj8EfllDF16_DF16_fEEv20rocsparse_direction_NS_24const_host_device_scalarIT1_EET3_PKS5_PKT2_SA_S7_PKT4_S5_PKT5_S4_PT6_21rocsparse_index_base_b.num_vgpr, 22
	.set _ZN9rocsparseL22bsrxmvn_general_kernelILj64ELj8EfllDF16_DF16_fEEv20rocsparse_direction_NS_24const_host_device_scalarIT1_EET3_PKS5_PKT2_SA_S7_PKT4_S5_PKT5_S4_PT6_21rocsparse_index_base_b.num_agpr, 0
	.set _ZN9rocsparseL22bsrxmvn_general_kernelILj64ELj8EfllDF16_DF16_fEEv20rocsparse_direction_NS_24const_host_device_scalarIT1_EET3_PKS5_PKT2_SA_S7_PKT4_S5_PKT5_S4_PT6_21rocsparse_index_base_b.numbered_sgpr, 37
	.set _ZN9rocsparseL22bsrxmvn_general_kernelILj64ELj8EfllDF16_DF16_fEEv20rocsparse_direction_NS_24const_host_device_scalarIT1_EET3_PKS5_PKT2_SA_S7_PKT4_S5_PKT5_S4_PT6_21rocsparse_index_base_b.num_named_barrier, 0
	.set _ZN9rocsparseL22bsrxmvn_general_kernelILj64ELj8EfllDF16_DF16_fEEv20rocsparse_direction_NS_24const_host_device_scalarIT1_EET3_PKS5_PKT2_SA_S7_PKT4_S5_PKT5_S4_PT6_21rocsparse_index_base_b.private_seg_size, 0
	.set _ZN9rocsparseL22bsrxmvn_general_kernelILj64ELj8EfllDF16_DF16_fEEv20rocsparse_direction_NS_24const_host_device_scalarIT1_EET3_PKS5_PKT2_SA_S7_PKT4_S5_PKT5_S4_PT6_21rocsparse_index_base_b.uses_vcc, 1
	.set _ZN9rocsparseL22bsrxmvn_general_kernelILj64ELj8EfllDF16_DF16_fEEv20rocsparse_direction_NS_24const_host_device_scalarIT1_EET3_PKS5_PKT2_SA_S7_PKT4_S5_PKT5_S4_PT6_21rocsparse_index_base_b.uses_flat_scratch, 0
	.set _ZN9rocsparseL22bsrxmvn_general_kernelILj64ELj8EfllDF16_DF16_fEEv20rocsparse_direction_NS_24const_host_device_scalarIT1_EET3_PKS5_PKT2_SA_S7_PKT4_S5_PKT5_S4_PT6_21rocsparse_index_base_b.has_dyn_sized_stack, 0
	.set _ZN9rocsparseL22bsrxmvn_general_kernelILj64ELj8EfllDF16_DF16_fEEv20rocsparse_direction_NS_24const_host_device_scalarIT1_EET3_PKS5_PKT2_SA_S7_PKT4_S5_PKT5_S4_PT6_21rocsparse_index_base_b.has_recursion, 0
	.set _ZN9rocsparseL22bsrxmvn_general_kernelILj64ELj8EfllDF16_DF16_fEEv20rocsparse_direction_NS_24const_host_device_scalarIT1_EET3_PKS5_PKT2_SA_S7_PKT4_S5_PKT5_S4_PT6_21rocsparse_index_base_b.has_indirect_call, 0
	.section	.AMDGPU.csdata,"",@progbits
; Kernel info:
; codeLenInByte = 1152
; TotalNumSgprs: 39
; NumVgprs: 22
; ScratchSize: 0
; MemoryBound: 0
; FloatMode: 240
; IeeeMode: 1
; LDSByteSize: 0 bytes/workgroup (compile time only)
; SGPRBlocks: 0
; VGPRBlocks: 2
; NumSGPRsForWavesPerEU: 39
; NumVGPRsForWavesPerEU: 22
; Occupancy: 16
; WaveLimiterHint : 0
; COMPUTE_PGM_RSRC2:SCRATCH_EN: 0
; COMPUTE_PGM_RSRC2:USER_SGPR: 6
; COMPUTE_PGM_RSRC2:TRAP_HANDLER: 0
; COMPUTE_PGM_RSRC2:TGID_X_EN: 1
; COMPUTE_PGM_RSRC2:TGID_Y_EN: 0
; COMPUTE_PGM_RSRC2:TGID_Z_EN: 0
; COMPUTE_PGM_RSRC2:TIDIG_COMP_CNT: 0
	.section	.text._ZN9rocsparseL22bsrxmvn_general_kernelILj256ELj16EfllDF16_DF16_fEEv20rocsparse_direction_NS_24const_host_device_scalarIT1_EET3_PKS5_PKT2_SA_S7_PKT4_S5_PKT5_S4_PT6_21rocsparse_index_base_b,"axG",@progbits,_ZN9rocsparseL22bsrxmvn_general_kernelILj256ELj16EfllDF16_DF16_fEEv20rocsparse_direction_NS_24const_host_device_scalarIT1_EET3_PKS5_PKT2_SA_S7_PKT4_S5_PKT5_S4_PT6_21rocsparse_index_base_b,comdat
	.globl	_ZN9rocsparseL22bsrxmvn_general_kernelILj256ELj16EfllDF16_DF16_fEEv20rocsparse_direction_NS_24const_host_device_scalarIT1_EET3_PKS5_PKT2_SA_S7_PKT4_S5_PKT5_S4_PT6_21rocsparse_index_base_b ; -- Begin function _ZN9rocsparseL22bsrxmvn_general_kernelILj256ELj16EfllDF16_DF16_fEEv20rocsparse_direction_NS_24const_host_device_scalarIT1_EET3_PKS5_PKT2_SA_S7_PKT4_S5_PKT5_S4_PT6_21rocsparse_index_base_b
	.p2align	8
	.type	_ZN9rocsparseL22bsrxmvn_general_kernelILj256ELj16EfllDF16_DF16_fEEv20rocsparse_direction_NS_24const_host_device_scalarIT1_EET3_PKS5_PKT2_SA_S7_PKT4_S5_PKT5_S4_PT6_21rocsparse_index_base_b,@function
_ZN9rocsparseL22bsrxmvn_general_kernelILj256ELj16EfllDF16_DF16_fEEv20rocsparse_direction_NS_24const_host_device_scalarIT1_EET3_PKS5_PKT2_SA_S7_PKT4_S5_PKT5_S4_PT6_21rocsparse_index_base_b: ; @_ZN9rocsparseL22bsrxmvn_general_kernelILj256ELj16EfllDF16_DF16_fEEv20rocsparse_direction_NS_24const_host_device_scalarIT1_EET3_PKS5_PKT2_SA_S7_PKT4_S5_PKT5_S4_PT6_21rocsparse_index_base_b
; %bb.0:
	s_clause 0x2
	s_load_dwordx2 s[16:17], s[4:5], 0x60
	s_load_dwordx2 s[18:19], s[4:5], 0x8
	;; [unrolled: 1-line block ×3, first 2 shown]
	s_waitcnt lgkmcnt(0)
	s_bitcmp1_b32 s17, 0
	s_cselect_b32 s0, -1, 0
	s_and_b32 vcc_lo, exec_lo, s0
	s_xor_b32 s0, s0, -1
	s_cbranch_vccnz .LBB61_2
; %bb.1:
	s_load_dword s18, s[18:19], 0x0
.LBB61_2:
	s_andn2_b32 vcc_lo, exec_lo, s0
	s_cbranch_vccnz .LBB61_4
; %bb.3:
	s_load_dword s20, s[20:21], 0x0
.LBB61_4:
	s_waitcnt lgkmcnt(0)
	v_cmp_neq_f32_e64 s0, s18, 0
	v_cmp_neq_f32_e64 s1, s20, 1.0
	s_mov_b32 s7, 0
	s_or_b32 s0, s0, s1
	s_andn2_b32 vcc_lo, exec_lo, s0
	s_cbranch_vccnz .LBB61_26
; %bb.5:
	s_load_dwordx2 s[0:1], s[4:5], 0x18
	s_waitcnt lgkmcnt(0)
	s_cmp_eq_u64 s[0:1], 0
	s_cbranch_scc1 .LBB61_7
; %bb.6:
	s_lshl_b64 s[2:3], s[6:7], 3
	s_add_u32 s0, s0, s2
	s_addc_u32 s1, s1, s3
	s_load_dwordx2 s[0:1], s[0:1], 0x0
	s_waitcnt lgkmcnt(0)
	s_sub_u32 s6, s0, s16
	s_subb_u32 s7, s1, 0
.LBB61_7:
	s_load_dwordx2 s[22:23], s[4:5], 0x40
	v_lshrrev_b32_e32 v1, 4, v0
	v_mov_b32_e32 v2, 0
	s_mov_b32 s0, exec_lo
	s_waitcnt lgkmcnt(0)
	v_cmpx_gt_i64_e64 s[22:23], v[1:2]
	s_cbranch_execz .LBB61_26
; %bb.8:
	s_load_dwordx8 s[8:15], s[4:5], 0x20
	s_lshl_b64 s[26:27], s[6:7], 3
	v_and_b32_e32 v3, 15, v0
	v_mbcnt_lo_u32_b32 v0, -1, 0
	s_load_dword s21, s[4:5], 0x0
	s_mul_i32 s31, s6, s23
	s_mul_hi_u32 s33, s6, s22
	s_mul_i32 s30, s6, s22
	v_xor_b32_e32 v5, 8, v0
	s_mul_i32 s34, s7, s22
	v_xor_b32_e32 v6, 4, v0
	v_xor_b32_e32 v7, 2, v0
	;; [unrolled: 1-line block ×3, first 2 shown]
	v_cmp_gt_i32_e32 vcc_lo, 32, v5
	v_lshlrev_b32_e32 v9, 1, v3
	v_mov_b32_e32 v4, v2
	s_mul_i32 s35, s22, s23
	s_mul_hi_u32 s36, s22, s22
	v_cndmask_b32_e32 v10, v0, v5, vcc_lo
	v_cmp_gt_i32_e32 vcc_lo, 32, v6
	s_waitcnt lgkmcnt(0)
	s_add_u32 s28, s8, s26
	s_addc_u32 s29, s9, s27
	v_cmp_gt_u64_e64 s0, s[22:23], v[3:4]
	s_load_dwordx2 s[8:9], s[28:29], 0x0
	s_clause 0x1
	s_load_dwordx2 s[2:3], s[4:5], 0x58
	s_load_dwordx2 s[24:25], s[4:5], 0x48
	v_cndmask_b32_e32 v11, v0, v6, vcc_lo
	v_cmp_gt_i32_e32 vcc_lo, 32, v7
	v_cmp_eq_f32_e64 s19, s20, 0
	v_cmp_eq_u32_e64 s1, 15, v3
	s_mov_b32 s17, 0
	v_lshlrev_b32_e32 v17, 2, v11
	v_cndmask_b32_e32 v7, v0, v7, vcc_lo
	v_cmp_gt_i32_e32 vcc_lo, 32, v8
	v_lshlrev_b32_e32 v18, 2, v7
	v_cndmask_b32_e32 v8, v0, v8, vcc_lo
	v_lshlrev_b32_e32 v0, 2, v10
	v_lshlrev_b32_e32 v19, 2, v8
	s_waitcnt lgkmcnt(0)
	s_sub_u32 s4, s8, s16
	s_subb_u32 s5, s9, 0
	s_add_u32 s6, s28, 8
	s_addc_u32 s7, s29, 0
	s_add_u32 s26, s10, s26
	s_addc_u32 s27, s11, s27
	s_cmp_eq_u64 s[10:11], 0
	v_mad_u64_u32 v[5:6], null, s22, s4, v[1:2]
	s_cselect_b32 s7, s7, s27
	s_cselect_b32 s6, s6, s26
	s_mul_i32 s29, s22, s22
	s_load_dwordx2 s[10:11], s[6:7], 0x0
	s_mul_i32 s6, s23, s4
	s_mul_i32 s7, s22, s5
	v_mul_lo_u32 v10, s23, v5
	v_add3_u32 v7, s7, s6, v6
	v_mad_u64_u32 v[5:6], null, s22, v5, 0
	v_mul_lo_u32 v11, s22, v7
	v_add_co_u32 v7, s24, s24, v9
	v_add_co_ci_u32_e64 v8, null, s25, 0, s24
	v_add3_u32 v6, v6, v11, v10
	s_waitcnt lgkmcnt(0)
	s_sub_u32 s6, s10, s16
	s_subb_u32 s7, s11, 0
	s_cmp_lg_u32 s21, 0
	s_cselect_b32 s21, -1, 0
	s_add_i32 s26, s33, s31
	s_add_i32 s31, s26, s34
	v_cmp_lt_i64_e64 s26, s[8:9], s[10:11]
	s_lshl_b64 s[24:25], s[30:31], 2
	s_add_u32 s27, s2, s24
	s_addc_u32 s3, s3, s25
	s_add_i32 s2, s36, s35
	s_lshl_b64 s[8:9], s[22:23], 1
	s_lshl_b64 s[10:11], s[22:23], 4
	s_add_i32 s28, s2, s35
	s_branch .LBB61_10
.LBB61_9:                               ;   in Loop: Header=BB61_10 Depth=1
	s_or_b32 exec_lo, exec_lo, s2
	v_add_co_u32 v1, vcc_lo, v1, 16
	v_add_co_ci_u32_e64 v2, null, 0, v2, vcc_lo
	v_add_co_u32 v5, s2, v5, s10
	v_add_co_ci_u32_e64 v6, null, s11, v6, s2
	v_cmp_le_i64_e32 vcc_lo, s[22:23], v[1:2]
	s_or_b32 s17, vcc_lo, s17
	s_andn2_b32 exec_lo, exec_lo, s17
	s_cbranch_execz .LBB61_26
.LBB61_10:                              ; =>This Loop Header: Depth=1
                                        ;     Child Loop BB61_14 Depth 2
                                        ;       Child Loop BB61_17 Depth 3
	v_mov_b32_e32 v20, 0
	s_andn2_b32 vcc_lo, exec_lo, s26
	s_cbranch_vccnz .LBB61_21
; %bb.11:                               ;   in Loop: Header=BB61_10 Depth=1
	s_waitcnt lgkmcnt(0)
	v_mov_b32_e32 v10, v6
	v_mov_b32_e32 v20, 0
	;; [unrolled: 1-line block ×3, first 2 shown]
	s_mov_b64 s[24:25], s[4:5]
	s_branch .LBB61_14
.LBB61_12:                              ;   in Loop: Header=BB61_14 Depth=2
	s_or_b32 exec_lo, exec_lo, s33
.LBB61_13:                              ;   in Loop: Header=BB61_14 Depth=2
	s_or_b32 exec_lo, exec_lo, s30
	s_add_u32 s24, s24, 1
	s_addc_u32 s25, s25, 0
	v_add_co_u32 v9, vcc_lo, v9, s29
	v_cmp_ge_i64_e64 s2, s[24:25], s[6:7]
	v_add_co_ci_u32_e64 v10, null, s28, v10, vcc_lo
	s_and_b32 vcc_lo, exec_lo, s2
	s_cbranch_vccnz .LBB61_21
.LBB61_14:                              ;   Parent Loop BB61_10 Depth=1
                                        ; =>  This Loop Header: Depth=2
                                        ;       Child Loop BB61_17 Depth 3
	s_and_saveexec_b32 s30, s0
	s_cbranch_execz .LBB61_13
; %bb.15:                               ;   in Loop: Header=BB61_14 Depth=2
	s_lshl_b64 s[34:35], s[24:25], 3
	s_mul_i32 s31, s24, s23
	s_add_u32 s34, s12, s34
	s_addc_u32 s35, s13, s35
	s_mul_hi_u32 s33, s24, s22
	s_load_dwordx2 s[34:35], s[34:35], 0x0
	v_mov_b32_e32 v14, v4
	v_mov_b32_e32 v13, v3
	s_waitcnt lgkmcnt(0)
	s_sub_u32 s2, s34, s16
	s_subb_u32 s35, s35, 0
	v_mad_u64_u32 v[11:12], null, s8, s2, v[7:8]
	s_mul_i32 s2, s9, s2
	s_mul_i32 s35, s8, s35
	s_mul_i32 s34, s25, s22
	s_add_i32 s31, s33, s31
	s_mov_b32 s33, 0
	s_add_i32 s31, s31, s34
	v_add3_u32 v12, s35, s2, v12
	s_mul_i32 s34, s24, s22
	s_branch .LBB61_17
.LBB61_16:                              ;   in Loop: Header=BB61_17 Depth=3
	v_lshlrev_b64 v[15:16], 1, v[15:16]
	v_add_co_u32 v15, vcc_lo, s14, v15
	v_add_co_ci_u32_e64 v16, null, s15, v16, vcc_lo
	v_add_co_u32 v13, vcc_lo, v13, 16
	global_load_ushort v21, v[11:12], off
	global_load_ushort v15, v[15:16], off
	v_add_co_ci_u32_e64 v14, null, 0, v14, vcc_lo
	v_add_co_u32 v11, s2, v11, 32
	v_add_co_ci_u32_e64 v12, null, 0, v12, s2
	v_cmp_le_i64_e32 vcc_lo, s[22:23], v[13:14]
	s_or_b32 s33, vcc_lo, s33
	s_waitcnt vmcnt(0)
	v_fma_mix_f32 v20, v15, v21, v20 op_sel_hi:[1,1,0]
	s_andn2_b32 exec_lo, exec_lo, s33
	s_cbranch_execz .LBB61_12
.LBB61_17:                              ;   Parent Loop BB61_10 Depth=1
                                        ;     Parent Loop BB61_14 Depth=2
                                        ; =>    This Inner Loop Header: Depth=3
	s_and_b32 vcc_lo, exec_lo, s21
	s_cbranch_vccz .LBB61_19
; %bb.18:                               ;   in Loop: Header=BB61_17 Depth=3
	v_add_co_u32 v15, vcc_lo, v13, s34
	v_add_co_ci_u32_e64 v16, null, s31, v14, vcc_lo
	v_mul_lo_u32 v21, v15, s23
	v_mul_lo_u32 v22, v16, s22
	v_mad_u64_u32 v[15:16], null, v15, s22, v[1:2]
	v_add3_u32 v16, v22, v16, v21
	s_cbranch_execnz .LBB61_16
	s_branch .LBB61_20
.LBB61_19:                              ;   in Loop: Header=BB61_17 Depth=3
                                        ; implicit-def: $vgpr15_vgpr16
.LBB61_20:                              ;   in Loop: Header=BB61_17 Depth=3
	v_add_co_u32 v15, vcc_lo, v9, v13
	v_add_co_ci_u32_e64 v16, null, v10, v14, vcc_lo
	s_branch .LBB61_16
.LBB61_21:                              ;   in Loop: Header=BB61_10 Depth=1
	ds_bpermute_b32 v9, v0, v20
	s_waitcnt lgkmcnt(0)
	v_add_f32_e32 v9, v20, v9
	ds_bpermute_b32 v10, v17, v9
	s_waitcnt lgkmcnt(0)
	v_add_f32_e32 v9, v9, v10
	ds_bpermute_b32 v10, v18, v9
	s_waitcnt lgkmcnt(0)
	v_add_f32_e32 v9, v9, v10
	ds_bpermute_b32 v10, v19, v9
	s_and_saveexec_b32 s2, s1
	s_cbranch_execz .LBB61_9
; %bb.22:                               ;   in Loop: Header=BB61_10 Depth=1
	s_waitcnt lgkmcnt(0)
	v_add_f32_e32 v11, v9, v10
	v_lshlrev_b64 v[9:10], 2, v[1:2]
	s_and_b32 vcc_lo, exec_lo, s19
	v_mul_f32_e32 v11, s18, v11
	s_cbranch_vccz .LBB61_24
; %bb.23:                               ;   in Loop: Header=BB61_10 Depth=1
	v_add_co_u32 v12, vcc_lo, s27, v9
	v_add_co_ci_u32_e64 v13, null, s3, v10, vcc_lo
	global_store_dword v[12:13], v11, off
	s_cbranch_execnz .LBB61_9
	s_branch .LBB61_25
.LBB61_24:                              ;   in Loop: Header=BB61_10 Depth=1
.LBB61_25:                              ;   in Loop: Header=BB61_10 Depth=1
	v_add_co_u32 v9, vcc_lo, s27, v9
	v_add_co_ci_u32_e64 v10, null, s3, v10, vcc_lo
	global_load_dword v12, v[9:10], off
	s_waitcnt vmcnt(0)
	v_fmac_f32_e32 v11, s20, v12
	global_store_dword v[9:10], v11, off
	s_branch .LBB61_9
.LBB61_26:
	s_endpgm
	.section	.rodata,"a",@progbits
	.p2align	6, 0x0
	.amdhsa_kernel _ZN9rocsparseL22bsrxmvn_general_kernelILj256ELj16EfllDF16_DF16_fEEv20rocsparse_direction_NS_24const_host_device_scalarIT1_EET3_PKS5_PKT2_SA_S7_PKT4_S5_PKT5_S4_PT6_21rocsparse_index_base_b
		.amdhsa_group_segment_fixed_size 0
		.amdhsa_private_segment_fixed_size 0
		.amdhsa_kernarg_size 104
		.amdhsa_user_sgpr_count 6
		.amdhsa_user_sgpr_private_segment_buffer 1
		.amdhsa_user_sgpr_dispatch_ptr 0
		.amdhsa_user_sgpr_queue_ptr 0
		.amdhsa_user_sgpr_kernarg_segment_ptr 1
		.amdhsa_user_sgpr_dispatch_id 0
		.amdhsa_user_sgpr_flat_scratch_init 0
		.amdhsa_user_sgpr_private_segment_size 0
		.amdhsa_wavefront_size32 1
		.amdhsa_uses_dynamic_stack 0
		.amdhsa_system_sgpr_private_segment_wavefront_offset 0
		.amdhsa_system_sgpr_workgroup_id_x 1
		.amdhsa_system_sgpr_workgroup_id_y 0
		.amdhsa_system_sgpr_workgroup_id_z 0
		.amdhsa_system_sgpr_workgroup_info 0
		.amdhsa_system_vgpr_workitem_id 0
		.amdhsa_next_free_vgpr 23
		.amdhsa_next_free_sgpr 37
		.amdhsa_reserve_vcc 1
		.amdhsa_reserve_flat_scratch 0
		.amdhsa_float_round_mode_32 0
		.amdhsa_float_round_mode_16_64 0
		.amdhsa_float_denorm_mode_32 3
		.amdhsa_float_denorm_mode_16_64 3
		.amdhsa_dx10_clamp 1
		.amdhsa_ieee_mode 1
		.amdhsa_fp16_overflow 0
		.amdhsa_workgroup_processor_mode 1
		.amdhsa_memory_ordered 1
		.amdhsa_forward_progress 1
		.amdhsa_shared_vgpr_count 0
		.amdhsa_exception_fp_ieee_invalid_op 0
		.amdhsa_exception_fp_denorm_src 0
		.amdhsa_exception_fp_ieee_div_zero 0
		.amdhsa_exception_fp_ieee_overflow 0
		.amdhsa_exception_fp_ieee_underflow 0
		.amdhsa_exception_fp_ieee_inexact 0
		.amdhsa_exception_int_div_zero 0
	.end_amdhsa_kernel
	.section	.text._ZN9rocsparseL22bsrxmvn_general_kernelILj256ELj16EfllDF16_DF16_fEEv20rocsparse_direction_NS_24const_host_device_scalarIT1_EET3_PKS5_PKT2_SA_S7_PKT4_S5_PKT5_S4_PT6_21rocsparse_index_base_b,"axG",@progbits,_ZN9rocsparseL22bsrxmvn_general_kernelILj256ELj16EfllDF16_DF16_fEEv20rocsparse_direction_NS_24const_host_device_scalarIT1_EET3_PKS5_PKT2_SA_S7_PKT4_S5_PKT5_S4_PT6_21rocsparse_index_base_b,comdat
.Lfunc_end61:
	.size	_ZN9rocsparseL22bsrxmvn_general_kernelILj256ELj16EfllDF16_DF16_fEEv20rocsparse_direction_NS_24const_host_device_scalarIT1_EET3_PKS5_PKT2_SA_S7_PKT4_S5_PKT5_S4_PT6_21rocsparse_index_base_b, .Lfunc_end61-_ZN9rocsparseL22bsrxmvn_general_kernelILj256ELj16EfllDF16_DF16_fEEv20rocsparse_direction_NS_24const_host_device_scalarIT1_EET3_PKS5_PKT2_SA_S7_PKT4_S5_PKT5_S4_PT6_21rocsparse_index_base_b
                                        ; -- End function
	.set _ZN9rocsparseL22bsrxmvn_general_kernelILj256ELj16EfllDF16_DF16_fEEv20rocsparse_direction_NS_24const_host_device_scalarIT1_EET3_PKS5_PKT2_SA_S7_PKT4_S5_PKT5_S4_PT6_21rocsparse_index_base_b.num_vgpr, 23
	.set _ZN9rocsparseL22bsrxmvn_general_kernelILj256ELj16EfllDF16_DF16_fEEv20rocsparse_direction_NS_24const_host_device_scalarIT1_EET3_PKS5_PKT2_SA_S7_PKT4_S5_PKT5_S4_PT6_21rocsparse_index_base_b.num_agpr, 0
	.set _ZN9rocsparseL22bsrxmvn_general_kernelILj256ELj16EfllDF16_DF16_fEEv20rocsparse_direction_NS_24const_host_device_scalarIT1_EET3_PKS5_PKT2_SA_S7_PKT4_S5_PKT5_S4_PT6_21rocsparse_index_base_b.numbered_sgpr, 37
	.set _ZN9rocsparseL22bsrxmvn_general_kernelILj256ELj16EfllDF16_DF16_fEEv20rocsparse_direction_NS_24const_host_device_scalarIT1_EET3_PKS5_PKT2_SA_S7_PKT4_S5_PKT5_S4_PT6_21rocsparse_index_base_b.num_named_barrier, 0
	.set _ZN9rocsparseL22bsrxmvn_general_kernelILj256ELj16EfllDF16_DF16_fEEv20rocsparse_direction_NS_24const_host_device_scalarIT1_EET3_PKS5_PKT2_SA_S7_PKT4_S5_PKT5_S4_PT6_21rocsparse_index_base_b.private_seg_size, 0
	.set _ZN9rocsparseL22bsrxmvn_general_kernelILj256ELj16EfllDF16_DF16_fEEv20rocsparse_direction_NS_24const_host_device_scalarIT1_EET3_PKS5_PKT2_SA_S7_PKT4_S5_PKT5_S4_PT6_21rocsparse_index_base_b.uses_vcc, 1
	.set _ZN9rocsparseL22bsrxmvn_general_kernelILj256ELj16EfllDF16_DF16_fEEv20rocsparse_direction_NS_24const_host_device_scalarIT1_EET3_PKS5_PKT2_SA_S7_PKT4_S5_PKT5_S4_PT6_21rocsparse_index_base_b.uses_flat_scratch, 0
	.set _ZN9rocsparseL22bsrxmvn_general_kernelILj256ELj16EfllDF16_DF16_fEEv20rocsparse_direction_NS_24const_host_device_scalarIT1_EET3_PKS5_PKT2_SA_S7_PKT4_S5_PKT5_S4_PT6_21rocsparse_index_base_b.has_dyn_sized_stack, 0
	.set _ZN9rocsparseL22bsrxmvn_general_kernelILj256ELj16EfllDF16_DF16_fEEv20rocsparse_direction_NS_24const_host_device_scalarIT1_EET3_PKS5_PKT2_SA_S7_PKT4_S5_PKT5_S4_PT6_21rocsparse_index_base_b.has_recursion, 0
	.set _ZN9rocsparseL22bsrxmvn_general_kernelILj256ELj16EfllDF16_DF16_fEEv20rocsparse_direction_NS_24const_host_device_scalarIT1_EET3_PKS5_PKT2_SA_S7_PKT4_S5_PKT5_S4_PT6_21rocsparse_index_base_b.has_indirect_call, 0
	.section	.AMDGPU.csdata,"",@progbits
; Kernel info:
; codeLenInByte = 1184
; TotalNumSgprs: 39
; NumVgprs: 23
; ScratchSize: 0
; MemoryBound: 0
; FloatMode: 240
; IeeeMode: 1
; LDSByteSize: 0 bytes/workgroup (compile time only)
; SGPRBlocks: 0
; VGPRBlocks: 2
; NumSGPRsForWavesPerEU: 39
; NumVGPRsForWavesPerEU: 23
; Occupancy: 16
; WaveLimiterHint : 0
; COMPUTE_PGM_RSRC2:SCRATCH_EN: 0
; COMPUTE_PGM_RSRC2:USER_SGPR: 6
; COMPUTE_PGM_RSRC2:TRAP_HANDLER: 0
; COMPUTE_PGM_RSRC2:TGID_X_EN: 1
; COMPUTE_PGM_RSRC2:TGID_Y_EN: 0
; COMPUTE_PGM_RSRC2:TGID_Z_EN: 0
; COMPUTE_PGM_RSRC2:TIDIG_COMP_CNT: 0
	.section	.text._ZN9rocsparseL22bsrxmvn_general_kernelILj1024ELj32EfllDF16_DF16_fEEv20rocsparse_direction_NS_24const_host_device_scalarIT1_EET3_PKS5_PKT2_SA_S7_PKT4_S5_PKT5_S4_PT6_21rocsparse_index_base_b,"axG",@progbits,_ZN9rocsparseL22bsrxmvn_general_kernelILj1024ELj32EfllDF16_DF16_fEEv20rocsparse_direction_NS_24const_host_device_scalarIT1_EET3_PKS5_PKT2_SA_S7_PKT4_S5_PKT5_S4_PT6_21rocsparse_index_base_b,comdat
	.globl	_ZN9rocsparseL22bsrxmvn_general_kernelILj1024ELj32EfllDF16_DF16_fEEv20rocsparse_direction_NS_24const_host_device_scalarIT1_EET3_PKS5_PKT2_SA_S7_PKT4_S5_PKT5_S4_PT6_21rocsparse_index_base_b ; -- Begin function _ZN9rocsparseL22bsrxmvn_general_kernelILj1024ELj32EfllDF16_DF16_fEEv20rocsparse_direction_NS_24const_host_device_scalarIT1_EET3_PKS5_PKT2_SA_S7_PKT4_S5_PKT5_S4_PT6_21rocsparse_index_base_b
	.p2align	8
	.type	_ZN9rocsparseL22bsrxmvn_general_kernelILj1024ELj32EfllDF16_DF16_fEEv20rocsparse_direction_NS_24const_host_device_scalarIT1_EET3_PKS5_PKT2_SA_S7_PKT4_S5_PKT5_S4_PT6_21rocsparse_index_base_b,@function
_ZN9rocsparseL22bsrxmvn_general_kernelILj1024ELj32EfllDF16_DF16_fEEv20rocsparse_direction_NS_24const_host_device_scalarIT1_EET3_PKS5_PKT2_SA_S7_PKT4_S5_PKT5_S4_PT6_21rocsparse_index_base_b: ; @_ZN9rocsparseL22bsrxmvn_general_kernelILj1024ELj32EfllDF16_DF16_fEEv20rocsparse_direction_NS_24const_host_device_scalarIT1_EET3_PKS5_PKT2_SA_S7_PKT4_S5_PKT5_S4_PT6_21rocsparse_index_base_b
; %bb.0:
	s_clause 0x2
	s_load_dwordx2 s[16:17], s[4:5], 0x60
	s_load_dwordx2 s[18:19], s[4:5], 0x8
	;; [unrolled: 1-line block ×3, first 2 shown]
	s_waitcnt lgkmcnt(0)
	s_bitcmp1_b32 s17, 0
	s_cselect_b32 s0, -1, 0
	s_and_b32 vcc_lo, exec_lo, s0
	s_xor_b32 s0, s0, -1
	s_cbranch_vccnz .LBB62_2
; %bb.1:
	s_load_dword s18, s[18:19], 0x0
.LBB62_2:
	s_andn2_b32 vcc_lo, exec_lo, s0
	s_cbranch_vccnz .LBB62_4
; %bb.3:
	s_load_dword s20, s[20:21], 0x0
.LBB62_4:
	s_waitcnt lgkmcnt(0)
	v_cmp_neq_f32_e64 s0, s18, 0
	v_cmp_neq_f32_e64 s1, s20, 1.0
	s_mov_b32 s7, 0
	s_or_b32 s0, s0, s1
	s_andn2_b32 vcc_lo, exec_lo, s0
	s_cbranch_vccnz .LBB62_26
; %bb.5:
	s_load_dwordx2 s[0:1], s[4:5], 0x18
	s_waitcnt lgkmcnt(0)
	s_cmp_eq_u64 s[0:1], 0
	s_cbranch_scc1 .LBB62_7
; %bb.6:
	s_lshl_b64 s[2:3], s[6:7], 3
	s_add_u32 s0, s0, s2
	s_addc_u32 s1, s1, s3
	s_load_dwordx2 s[0:1], s[0:1], 0x0
	s_waitcnt lgkmcnt(0)
	s_sub_u32 s6, s0, s16
	s_subb_u32 s7, s1, 0
.LBB62_7:
	s_load_dwordx2 s[22:23], s[4:5], 0x40
	v_lshrrev_b32_e32 v1, 5, v0
	v_mov_b32_e32 v2, 0
	s_mov_b32 s0, exec_lo
	s_waitcnt lgkmcnt(0)
	v_cmpx_gt_i64_e64 s[22:23], v[1:2]
	s_cbranch_execz .LBB62_26
; %bb.8:
	s_load_dwordx8 s[8:15], s[4:5], 0x20
	s_lshl_b64 s[26:27], s[6:7], 3
	s_clause 0x1
	s_load_dwordx2 s[2:3], s[4:5], 0x58
	s_load_dwordx2 s[24:25], s[4:5], 0x48
	v_and_b32_e32 v3, 31, v0
	v_mbcnt_lo_u32_b32 v0, -1, 0
	s_load_dword s21, s[4:5], 0x0
	s_mul_i32 s31, s6, s23
	s_mul_hi_u32 s33, s6, s22
	s_mul_i32 s30, s6, s22
	v_xor_b32_e32 v5, 16, v0
	v_xor_b32_e32 v6, 8, v0
	s_mul_i32 s34, s7, s22
	v_xor_b32_e32 v7, 4, v0
	v_xor_b32_e32 v8, 2, v0
	v_cmp_gt_i32_e32 vcc_lo, 32, v5
	v_xor_b32_e32 v9, 1, v0
	v_lshlrev_b32_e32 v10, 1, v3
	v_mov_b32_e32 v4, v2
	s_mul_i32 s35, s22, s23
	v_cndmask_b32_e32 v11, v0, v5, vcc_lo
	s_waitcnt lgkmcnt(0)
	s_add_u32 s28, s8, s26
	s_addc_u32 s29, s9, s27
	v_cmp_gt_i32_e32 vcc_lo, 32, v6
	s_load_dwordx2 s[8:9], s[28:29], 0x0
	s_mul_hi_u32 s36, s22, s22
	v_cmp_gt_u64_e64 s0, s[22:23], v[3:4]
	v_cmp_eq_f32_e64 s19, s20, 0
	v_cndmask_b32_e32 v12, v0, v6, vcc_lo
	v_cmp_gt_i32_e32 vcc_lo, 32, v7
	v_cmp_eq_u32_e64 s1, 31, v3
	s_mov_b32 s17, 0
	v_lshlrev_b32_e32 v17, 2, v12
	v_cndmask_b32_e32 v7, v0, v7, vcc_lo
	v_cmp_gt_i32_e32 vcc_lo, 32, v8
	v_lshlrev_b32_e32 v18, 2, v7
	v_cndmask_b32_e32 v8, v0, v8, vcc_lo
	v_cmp_gt_i32_e32 vcc_lo, 32, v9
	s_waitcnt lgkmcnt(0)
	s_sub_u32 s4, s8, s16
	s_subb_u32 s5, s9, 0
	s_add_u32 s6, s28, 8
	s_addc_u32 s7, s29, 0
	s_add_u32 s26, s10, s26
	s_addc_u32 s27, s11, s27
	s_cmp_eq_u64 s[10:11], 0
	v_mad_u64_u32 v[5:6], null, s22, s4, v[1:2]
	s_cselect_b32 s7, s7, s27
	s_cselect_b32 s6, s6, s26
	v_cndmask_b32_e32 v9, v0, v9, vcc_lo
	s_load_dwordx2 s[10:11], s[6:7], 0x0
	s_mul_i32 s6, s23, s4
	s_mul_i32 s7, s22, s5
	v_lshlrev_b32_e32 v0, 2, v11
	v_add3_u32 v7, s7, s6, v6
	v_lshlrev_b32_e32 v20, 2, v9
	v_mul_lo_u32 v9, s23, v5
	v_mad_u64_u32 v[5:6], null, s22, v5, 0
	v_mul_lo_u32 v11, s22, v7
	v_add_co_u32 v7, s24, s24, v10
	v_lshlrev_b32_e32 v19, 2, v8
	v_add_co_ci_u32_e64 v8, null, s25, 0, s24
	s_mul_i32 s29, s22, s22
	v_add3_u32 v6, v6, v11, v9
	s_waitcnt lgkmcnt(0)
	s_sub_u32 s6, s10, s16
	s_subb_u32 s7, s11, 0
	s_cmp_lg_u32 s21, 0
	s_cselect_b32 s21, -1, 0
	s_add_i32 s26, s33, s31
	s_add_i32 s31, s26, s34
	v_cmp_lt_i64_e64 s26, s[8:9], s[10:11]
	s_lshl_b64 s[24:25], s[30:31], 2
	s_add_u32 s27, s2, s24
	s_addc_u32 s3, s3, s25
	s_add_i32 s2, s36, s35
	s_lshl_b64 s[8:9], s[22:23], 1
	s_lshl_b64 s[10:11], s[22:23], 5
	s_add_i32 s28, s2, s35
	s_branch .LBB62_10
.LBB62_9:                               ;   in Loop: Header=BB62_10 Depth=1
	s_or_b32 exec_lo, exec_lo, s2
	v_add_co_u32 v1, vcc_lo, v1, 32
	v_add_co_ci_u32_e64 v2, null, 0, v2, vcc_lo
	v_add_co_u32 v5, s2, v5, s10
	v_add_co_ci_u32_e64 v6, null, s11, v6, s2
	v_cmp_le_i64_e32 vcc_lo, s[22:23], v[1:2]
	s_or_b32 s17, vcc_lo, s17
	s_andn2_b32 exec_lo, exec_lo, s17
	s_cbranch_execz .LBB62_26
.LBB62_10:                              ; =>This Loop Header: Depth=1
                                        ;     Child Loop BB62_14 Depth 2
                                        ;       Child Loop BB62_17 Depth 3
	v_mov_b32_e32 v21, 0
	s_andn2_b32 vcc_lo, exec_lo, s26
	s_cbranch_vccnz .LBB62_21
; %bb.11:                               ;   in Loop: Header=BB62_10 Depth=1
	s_waitcnt lgkmcnt(0)
	v_mov_b32_e32 v10, v6
	v_mov_b32_e32 v21, 0
	;; [unrolled: 1-line block ×3, first 2 shown]
	s_mov_b64 s[24:25], s[4:5]
	s_branch .LBB62_14
.LBB62_12:                              ;   in Loop: Header=BB62_14 Depth=2
	s_or_b32 exec_lo, exec_lo, s33
.LBB62_13:                              ;   in Loop: Header=BB62_14 Depth=2
	s_or_b32 exec_lo, exec_lo, s30
	s_add_u32 s24, s24, 1
	s_addc_u32 s25, s25, 0
	v_add_co_u32 v9, vcc_lo, v9, s29
	v_cmp_ge_i64_e64 s2, s[24:25], s[6:7]
	v_add_co_ci_u32_e64 v10, null, s28, v10, vcc_lo
	s_and_b32 vcc_lo, exec_lo, s2
	s_cbranch_vccnz .LBB62_21
.LBB62_14:                              ;   Parent Loop BB62_10 Depth=1
                                        ; =>  This Loop Header: Depth=2
                                        ;       Child Loop BB62_17 Depth 3
	s_and_saveexec_b32 s30, s0
	s_cbranch_execz .LBB62_13
; %bb.15:                               ;   in Loop: Header=BB62_14 Depth=2
	s_lshl_b64 s[34:35], s[24:25], 3
	s_mul_i32 s31, s24, s23
	s_add_u32 s34, s12, s34
	s_addc_u32 s35, s13, s35
	s_mul_hi_u32 s33, s24, s22
	s_load_dwordx2 s[34:35], s[34:35], 0x0
	v_mov_b32_e32 v14, v4
	v_mov_b32_e32 v13, v3
	s_waitcnt lgkmcnt(0)
	s_sub_u32 s2, s34, s16
	s_subb_u32 s35, s35, 0
	v_mad_u64_u32 v[11:12], null, s8, s2, v[7:8]
	s_mul_i32 s2, s9, s2
	s_mul_i32 s35, s8, s35
	;; [unrolled: 1-line block ×3, first 2 shown]
	s_add_i32 s31, s33, s31
	s_mov_b32 s33, 0
	s_add_i32 s31, s31, s34
	v_add3_u32 v12, s35, s2, v12
	s_mul_i32 s34, s24, s22
	s_branch .LBB62_17
.LBB62_16:                              ;   in Loop: Header=BB62_17 Depth=3
	v_lshlrev_b64 v[15:16], 1, v[15:16]
	v_add_co_u32 v15, vcc_lo, s14, v15
	v_add_co_ci_u32_e64 v16, null, s15, v16, vcc_lo
	v_add_co_u32 v13, vcc_lo, v13, 32
	global_load_ushort v22, v[11:12], off
	global_load_ushort v15, v[15:16], off
	v_add_co_ci_u32_e64 v14, null, 0, v14, vcc_lo
	v_add_co_u32 v11, s2, v11, 64
	v_add_co_ci_u32_e64 v12, null, 0, v12, s2
	v_cmp_le_i64_e32 vcc_lo, s[22:23], v[13:14]
	s_or_b32 s33, vcc_lo, s33
	s_waitcnt vmcnt(0)
	v_fma_mix_f32 v21, v15, v22, v21 op_sel_hi:[1,1,0]
	s_andn2_b32 exec_lo, exec_lo, s33
	s_cbranch_execz .LBB62_12
.LBB62_17:                              ;   Parent Loop BB62_10 Depth=1
                                        ;     Parent Loop BB62_14 Depth=2
                                        ; =>    This Inner Loop Header: Depth=3
	s_and_b32 vcc_lo, exec_lo, s21
	s_cbranch_vccz .LBB62_19
; %bb.18:                               ;   in Loop: Header=BB62_17 Depth=3
	v_add_co_u32 v15, vcc_lo, v13, s34
	v_add_co_ci_u32_e64 v16, null, s31, v14, vcc_lo
	v_mul_lo_u32 v22, v15, s23
	v_mul_lo_u32 v23, v16, s22
	v_mad_u64_u32 v[15:16], null, v15, s22, v[1:2]
	v_add3_u32 v16, v23, v16, v22
	s_cbranch_execnz .LBB62_16
	s_branch .LBB62_20
.LBB62_19:                              ;   in Loop: Header=BB62_17 Depth=3
                                        ; implicit-def: $vgpr15_vgpr16
.LBB62_20:                              ;   in Loop: Header=BB62_17 Depth=3
	v_add_co_u32 v15, vcc_lo, v9, v13
	v_add_co_ci_u32_e64 v16, null, v10, v14, vcc_lo
	s_branch .LBB62_16
.LBB62_21:                              ;   in Loop: Header=BB62_10 Depth=1
	ds_bpermute_b32 v9, v0, v21
	s_waitcnt lgkmcnt(0)
	v_add_f32_e32 v9, v21, v9
	ds_bpermute_b32 v10, v17, v9
	s_waitcnt lgkmcnt(0)
	v_add_f32_e32 v9, v9, v10
	;; [unrolled: 3-line block ×4, first 2 shown]
	ds_bpermute_b32 v10, v20, v9
	s_and_saveexec_b32 s2, s1
	s_cbranch_execz .LBB62_9
; %bb.22:                               ;   in Loop: Header=BB62_10 Depth=1
	s_waitcnt lgkmcnt(0)
	v_add_f32_e32 v11, v9, v10
	v_lshlrev_b64 v[9:10], 2, v[1:2]
	s_and_b32 vcc_lo, exec_lo, s19
	v_mul_f32_e32 v11, s18, v11
	s_cbranch_vccz .LBB62_24
; %bb.23:                               ;   in Loop: Header=BB62_10 Depth=1
	v_add_co_u32 v12, vcc_lo, s27, v9
	v_add_co_ci_u32_e64 v13, null, s3, v10, vcc_lo
	global_store_dword v[12:13], v11, off
	s_cbranch_execnz .LBB62_9
	s_branch .LBB62_25
.LBB62_24:                              ;   in Loop: Header=BB62_10 Depth=1
.LBB62_25:                              ;   in Loop: Header=BB62_10 Depth=1
	v_add_co_u32 v9, vcc_lo, s27, v9
	v_add_co_ci_u32_e64 v10, null, s3, v10, vcc_lo
	global_load_dword v12, v[9:10], off
	s_waitcnt vmcnt(0)
	v_fmac_f32_e32 v11, s20, v12
	global_store_dword v[9:10], v11, off
	s_branch .LBB62_9
.LBB62_26:
	s_endpgm
	.section	.rodata,"a",@progbits
	.p2align	6, 0x0
	.amdhsa_kernel _ZN9rocsparseL22bsrxmvn_general_kernelILj1024ELj32EfllDF16_DF16_fEEv20rocsparse_direction_NS_24const_host_device_scalarIT1_EET3_PKS5_PKT2_SA_S7_PKT4_S5_PKT5_S4_PT6_21rocsparse_index_base_b
		.amdhsa_group_segment_fixed_size 0
		.amdhsa_private_segment_fixed_size 0
		.amdhsa_kernarg_size 104
		.amdhsa_user_sgpr_count 6
		.amdhsa_user_sgpr_private_segment_buffer 1
		.amdhsa_user_sgpr_dispatch_ptr 0
		.amdhsa_user_sgpr_queue_ptr 0
		.amdhsa_user_sgpr_kernarg_segment_ptr 1
		.amdhsa_user_sgpr_dispatch_id 0
		.amdhsa_user_sgpr_flat_scratch_init 0
		.amdhsa_user_sgpr_private_segment_size 0
		.amdhsa_wavefront_size32 1
		.amdhsa_uses_dynamic_stack 0
		.amdhsa_system_sgpr_private_segment_wavefront_offset 0
		.amdhsa_system_sgpr_workgroup_id_x 1
		.amdhsa_system_sgpr_workgroup_id_y 0
		.amdhsa_system_sgpr_workgroup_id_z 0
		.amdhsa_system_sgpr_workgroup_info 0
		.amdhsa_system_vgpr_workitem_id 0
		.amdhsa_next_free_vgpr 24
		.amdhsa_next_free_sgpr 37
		.amdhsa_reserve_vcc 1
		.amdhsa_reserve_flat_scratch 0
		.amdhsa_float_round_mode_32 0
		.amdhsa_float_round_mode_16_64 0
		.amdhsa_float_denorm_mode_32 3
		.amdhsa_float_denorm_mode_16_64 3
		.amdhsa_dx10_clamp 1
		.amdhsa_ieee_mode 1
		.amdhsa_fp16_overflow 0
		.amdhsa_workgroup_processor_mode 1
		.amdhsa_memory_ordered 1
		.amdhsa_forward_progress 1
		.amdhsa_shared_vgpr_count 0
		.amdhsa_exception_fp_ieee_invalid_op 0
		.amdhsa_exception_fp_denorm_src 0
		.amdhsa_exception_fp_ieee_div_zero 0
		.amdhsa_exception_fp_ieee_overflow 0
		.amdhsa_exception_fp_ieee_underflow 0
		.amdhsa_exception_fp_ieee_inexact 0
		.amdhsa_exception_int_div_zero 0
	.end_amdhsa_kernel
	.section	.text._ZN9rocsparseL22bsrxmvn_general_kernelILj1024ELj32EfllDF16_DF16_fEEv20rocsparse_direction_NS_24const_host_device_scalarIT1_EET3_PKS5_PKT2_SA_S7_PKT4_S5_PKT5_S4_PT6_21rocsparse_index_base_b,"axG",@progbits,_ZN9rocsparseL22bsrxmvn_general_kernelILj1024ELj32EfllDF16_DF16_fEEv20rocsparse_direction_NS_24const_host_device_scalarIT1_EET3_PKS5_PKT2_SA_S7_PKT4_S5_PKT5_S4_PT6_21rocsparse_index_base_b,comdat
.Lfunc_end62:
	.size	_ZN9rocsparseL22bsrxmvn_general_kernelILj1024ELj32EfllDF16_DF16_fEEv20rocsparse_direction_NS_24const_host_device_scalarIT1_EET3_PKS5_PKT2_SA_S7_PKT4_S5_PKT5_S4_PT6_21rocsparse_index_base_b, .Lfunc_end62-_ZN9rocsparseL22bsrxmvn_general_kernelILj1024ELj32EfllDF16_DF16_fEEv20rocsparse_direction_NS_24const_host_device_scalarIT1_EET3_PKS5_PKT2_SA_S7_PKT4_S5_PKT5_S4_PT6_21rocsparse_index_base_b
                                        ; -- End function
	.set _ZN9rocsparseL22bsrxmvn_general_kernelILj1024ELj32EfllDF16_DF16_fEEv20rocsparse_direction_NS_24const_host_device_scalarIT1_EET3_PKS5_PKT2_SA_S7_PKT4_S5_PKT5_S4_PT6_21rocsparse_index_base_b.num_vgpr, 24
	.set _ZN9rocsparseL22bsrxmvn_general_kernelILj1024ELj32EfllDF16_DF16_fEEv20rocsparse_direction_NS_24const_host_device_scalarIT1_EET3_PKS5_PKT2_SA_S7_PKT4_S5_PKT5_S4_PT6_21rocsparse_index_base_b.num_agpr, 0
	.set _ZN9rocsparseL22bsrxmvn_general_kernelILj1024ELj32EfllDF16_DF16_fEEv20rocsparse_direction_NS_24const_host_device_scalarIT1_EET3_PKS5_PKT2_SA_S7_PKT4_S5_PKT5_S4_PT6_21rocsparse_index_base_b.numbered_sgpr, 37
	.set _ZN9rocsparseL22bsrxmvn_general_kernelILj1024ELj32EfllDF16_DF16_fEEv20rocsparse_direction_NS_24const_host_device_scalarIT1_EET3_PKS5_PKT2_SA_S7_PKT4_S5_PKT5_S4_PT6_21rocsparse_index_base_b.num_named_barrier, 0
	.set _ZN9rocsparseL22bsrxmvn_general_kernelILj1024ELj32EfllDF16_DF16_fEEv20rocsparse_direction_NS_24const_host_device_scalarIT1_EET3_PKS5_PKT2_SA_S7_PKT4_S5_PKT5_S4_PT6_21rocsparse_index_base_b.private_seg_size, 0
	.set _ZN9rocsparseL22bsrxmvn_general_kernelILj1024ELj32EfllDF16_DF16_fEEv20rocsparse_direction_NS_24const_host_device_scalarIT1_EET3_PKS5_PKT2_SA_S7_PKT4_S5_PKT5_S4_PT6_21rocsparse_index_base_b.uses_vcc, 1
	.set _ZN9rocsparseL22bsrxmvn_general_kernelILj1024ELj32EfllDF16_DF16_fEEv20rocsparse_direction_NS_24const_host_device_scalarIT1_EET3_PKS5_PKT2_SA_S7_PKT4_S5_PKT5_S4_PT6_21rocsparse_index_base_b.uses_flat_scratch, 0
	.set _ZN9rocsparseL22bsrxmvn_general_kernelILj1024ELj32EfllDF16_DF16_fEEv20rocsparse_direction_NS_24const_host_device_scalarIT1_EET3_PKS5_PKT2_SA_S7_PKT4_S5_PKT5_S4_PT6_21rocsparse_index_base_b.has_dyn_sized_stack, 0
	.set _ZN9rocsparseL22bsrxmvn_general_kernelILj1024ELj32EfllDF16_DF16_fEEv20rocsparse_direction_NS_24const_host_device_scalarIT1_EET3_PKS5_PKT2_SA_S7_PKT4_S5_PKT5_S4_PT6_21rocsparse_index_base_b.has_recursion, 0
	.set _ZN9rocsparseL22bsrxmvn_general_kernelILj1024ELj32EfllDF16_DF16_fEEv20rocsparse_direction_NS_24const_host_device_scalarIT1_EET3_PKS5_PKT2_SA_S7_PKT4_S5_PKT5_S4_PT6_21rocsparse_index_base_b.has_indirect_call, 0
	.section	.AMDGPU.csdata,"",@progbits
; Kernel info:
; codeLenInByte = 1216
; TotalNumSgprs: 39
; NumVgprs: 24
; ScratchSize: 0
; MemoryBound: 0
; FloatMode: 240
; IeeeMode: 1
; LDSByteSize: 0 bytes/workgroup (compile time only)
; SGPRBlocks: 0
; VGPRBlocks: 2
; NumSGPRsForWavesPerEU: 39
; NumVGPRsForWavesPerEU: 24
; Occupancy: 16
; WaveLimiterHint : 0
; COMPUTE_PGM_RSRC2:SCRATCH_EN: 0
; COMPUTE_PGM_RSRC2:USER_SGPR: 6
; COMPUTE_PGM_RSRC2:TRAP_HANDLER: 0
; COMPUTE_PGM_RSRC2:TGID_X_EN: 1
; COMPUTE_PGM_RSRC2:TGID_Y_EN: 0
; COMPUTE_PGM_RSRC2:TGID_Z_EN: 0
; COMPUTE_PGM_RSRC2:TIDIG_COMP_CNT: 0
	.section	.text._ZN9rocsparseL22bsrxmvn_general_kernelILj64ELj8Efii18rocsparse_bfloat16S1_fEEv20rocsparse_direction_NS_24const_host_device_scalarIT1_EET3_PKS6_PKT2_SB_S8_PKT4_S6_PKT5_S5_PT6_21rocsparse_index_base_b,"axG",@progbits,_ZN9rocsparseL22bsrxmvn_general_kernelILj64ELj8Efii18rocsparse_bfloat16S1_fEEv20rocsparse_direction_NS_24const_host_device_scalarIT1_EET3_PKS6_PKT2_SB_S8_PKT4_S6_PKT5_S5_PT6_21rocsparse_index_base_b,comdat
	.globl	_ZN9rocsparseL22bsrxmvn_general_kernelILj64ELj8Efii18rocsparse_bfloat16S1_fEEv20rocsparse_direction_NS_24const_host_device_scalarIT1_EET3_PKS6_PKT2_SB_S8_PKT4_S6_PKT5_S5_PT6_21rocsparse_index_base_b ; -- Begin function _ZN9rocsparseL22bsrxmvn_general_kernelILj64ELj8Efii18rocsparse_bfloat16S1_fEEv20rocsparse_direction_NS_24const_host_device_scalarIT1_EET3_PKS6_PKT2_SB_S8_PKT4_S6_PKT5_S5_PT6_21rocsparse_index_base_b
	.p2align	8
	.type	_ZN9rocsparseL22bsrxmvn_general_kernelILj64ELj8Efii18rocsparse_bfloat16S1_fEEv20rocsparse_direction_NS_24const_host_device_scalarIT1_EET3_PKS6_PKT2_SB_S8_PKT4_S6_PKT5_S5_PT6_21rocsparse_index_base_b,@function
_ZN9rocsparseL22bsrxmvn_general_kernelILj64ELj8Efii18rocsparse_bfloat16S1_fEEv20rocsparse_direction_NS_24const_host_device_scalarIT1_EET3_PKS6_PKT2_SB_S8_PKT4_S6_PKT5_S5_PT6_21rocsparse_index_base_b: ; @_ZN9rocsparseL22bsrxmvn_general_kernelILj64ELj8Efii18rocsparse_bfloat16S1_fEEv20rocsparse_direction_NS_24const_host_device_scalarIT1_EET3_PKS6_PKT2_SB_S8_PKT4_S6_PKT5_S5_PT6_21rocsparse_index_base_b
; %bb.0:
	s_clause 0x2
	s_load_dwordx2 s[2:3], s[4:5], 0x60
	s_load_dwordx2 s[16:17], s[4:5], 0x8
	;; [unrolled: 1-line block ×3, first 2 shown]
	s_waitcnt lgkmcnt(0)
	s_bitcmp1_b32 s3, 0
	s_cselect_b32 s0, -1, 0
	s_and_b32 vcc_lo, exec_lo, s0
	s_xor_b32 s0, s0, -1
	s_cbranch_vccnz .LBB63_2
; %bb.1:
	s_load_dword s16, s[16:17], 0x0
.LBB63_2:
	s_andn2_b32 vcc_lo, exec_lo, s0
	s_cbranch_vccnz .LBB63_4
; %bb.3:
	s_load_dword s18, s[18:19], 0x0
.LBB63_4:
	s_waitcnt lgkmcnt(0)
	v_cmp_neq_f32_e64 s0, s16, 0
	v_cmp_neq_f32_e64 s1, s18, 1.0
	s_or_b32 s0, s0, s1
	s_andn2_b32 vcc_lo, exec_lo, s0
	s_cbranch_vccnz .LBB63_26
; %bb.5:
	s_load_dwordx2 s[0:1], s[4:5], 0x18
	s_waitcnt lgkmcnt(0)
	s_cmp_eq_u64 s[0:1], 0
	s_cbranch_scc1 .LBB63_7
; %bb.6:
	s_ashr_i32 s7, s6, 31
	s_lshl_b64 s[6:7], s[6:7], 2
	s_add_u32 s0, s0, s6
	s_addc_u32 s1, s1, s7
	s_load_dword s0, s[0:1], 0x0
	s_waitcnt lgkmcnt(0)
	s_sub_i32 s6, s0, s2
.LBB63_7:
	s_load_dword s3, s[4:5], 0x40
	v_lshrrev_b32_e32 v1, 3, v0
	s_mov_b32 s0, exec_lo
	s_waitcnt lgkmcnt(0)
	v_cmpx_gt_i32_e64 s3, v1
	s_cbranch_execz .LBB63_26
; %bb.8:
	s_load_dwordx8 s[8:15], s[4:5], 0x20
	s_ashr_i32 s7, s6, 31
	v_mbcnt_lo_u32_b32 v4, -1, 0
	s_lshl_b64 s[0:1], s[6:7], 2
	v_and_b32_e32 v3, 7, v0
	v_mov_b32_e32 v2, 0
	s_mul_hi_u32 s17, s3, s3
	v_xor_b32_e32 v5, 4, v4
	v_xor_b32_e32 v6, 2, v4
	;; [unrolled: 1-line block ×3, first 2 shown]
	s_mul_i32 s19, s3, s3
	v_mul_lo_u32 v0, s3, v1
	v_cmp_gt_i32_e32 vcc_lo, 32, v5
	v_mul_lo_u32 v11, s3, v3
	s_mov_b32 s7, 0
	s_mul_i32 s6, s6, s3
	v_cndmask_b32_e32 v5, v4, v5, vcc_lo
	v_cmp_gt_i32_e32 vcc_lo, 32, v6
	s_waitcnt lgkmcnt(0)
	s_add_u32 s24, s8, s0
	s_addc_u32 s25, s9, s1
	v_lshlrev_b32_e32 v12, 2, v5
	s_load_dword s23, s[24:25], 0x0
	s_clause 0x2
	s_load_dwordx2 s[8:9], s[4:5], 0x58
	s_load_dwordx2 s[20:21], s[4:5], 0x48
	s_load_dword s4, s[4:5], 0x0
	v_cndmask_b32_e32 v6, v4, v6, vcc_lo
	v_cmp_gt_i32_e32 vcc_lo, 32, v7
	v_lshlrev_b32_e32 v13, 2, v6
	v_cndmask_b32_e32 v7, v4, v7, vcc_lo
	v_mov_b32_e32 v4, v2
	v_lshlrev_b32_e32 v14, 2, v7
	s_waitcnt lgkmcnt(0)
	s_sub_i32 s22, s23, s2
	s_add_u32 s5, s24, 4
	s_addc_u32 s24, s25, 0
	s_add_u32 s0, s10, s0
	s_addc_u32 s1, s11, s1
	s_cmp_eq_u64 s[10:11], 0
	s_mul_i32 s25, s22, s17
	s_cselect_b32 s1, s24, s1
	s_cselect_b32 s0, s5, s0
	v_cmp_eq_f32_e64 s10, s18, 0
	s_load_dword s5, s[0:1], 0x0
	v_cmp_gt_u32_e64 s0, s3, v3
	v_cmp_eq_u32_e64 s1, 7, v3
	s_waitcnt lgkmcnt(0)
	s_sub_i32 s11, s5, s2
	s_cmp_lt_i32 s23, s5
	s_mul_hi_u32 s5, s22, s19
	s_cselect_b32 s23, -1, 0
	s_cmp_lg_u32 s4, 0
	s_cselect_b32 s24, -1, 0
	s_ashr_i32 s4, s22, 31
	s_add_i32 s5, s5, s25
	s_mul_i32 s4, s4, s19
	s_mul_i32 s25, s22, s19
	s_add_i32 s26, s5, s4
	s_lshl_b32 s27, s3, 3
	s_branch .LBB63_10
.LBB63_9:                               ;   in Loop: Header=BB63_10 Depth=1
	s_or_b32 exec_lo, exec_lo, s4
	v_add_nc_u32_e32 v1, 8, v1
	v_add_nc_u32_e32 v0, s27, v0
	v_cmp_le_i32_e32 vcc_lo, s3, v1
	s_or_b32 s7, vcc_lo, s7
	s_andn2_b32 exec_lo, exec_lo, s7
	s_cbranch_execz .LBB63_26
.LBB63_10:                              ; =>This Loop Header: Depth=1
                                        ;     Child Loop BB63_14 Depth 2
                                        ;       Child Loop BB63_17 Depth 3
	v_mov_b32_e32 v15, 0
	s_andn2_b32 vcc_lo, exec_lo, s23
	s_cbranch_vccnz .LBB63_21
; %bb.11:                               ;   in Loop: Header=BB63_10 Depth=1
	v_ashrrev_i32_e32 v5, 31, v0
	v_add_co_u32 v16, vcc_lo, s25, v0
	v_mov_b32_e32 v15, 0
	s_mov_b32 s4, s22
	v_add_co_ci_u32_e64 v17, null, s26, v5, vcc_lo
	s_branch .LBB63_14
.LBB63_12:                              ;   in Loop: Header=BB63_14 Depth=2
	s_or_b32 exec_lo, exec_lo, s5
.LBB63_13:                              ;   in Loop: Header=BB63_14 Depth=2
	s_or_b32 exec_lo, exec_lo, s28
	v_add_co_u32 v16, vcc_lo, v16, s19
	v_add_co_ci_u32_e64 v17, null, s17, v17, vcc_lo
	s_add_i32 s4, s4, 1
	s_cmp_ge_i32 s4, s11
	s_cbranch_scc1 .LBB63_21
.LBB63_14:                              ;   Parent Loop BB63_10 Depth=1
                                        ; =>  This Loop Header: Depth=2
                                        ;       Child Loop BB63_17 Depth 3
	s_and_saveexec_b32 s28, s0
	s_cbranch_execz .LBB63_13
; %bb.15:                               ;   in Loop: Header=BB63_14 Depth=2
	s_ashr_i32 s5, s4, 31
	s_waitcnt lgkmcnt(0)
	v_mad_u64_u32 v[5:6], null, s19, s4, v[1:2]
	s_lshl_b64 s[30:31], s[4:5], 2
	s_mul_i32 s5, s19, s5
	s_add_u32 s30, s12, s30
	s_addc_u32 s31, s13, s31
	v_mov_b32_e32 v8, v4
	s_load_dword s29, s[30:31], 0x0
	s_mul_i32 s30, s17, s4
	v_mov_b32_e32 v18, v11
	v_mov_b32_e32 v7, v3
	v_add3_u32 v6, s5, s30, v6
	s_waitcnt lgkmcnt(0)
	s_sub_i32 s5, s29, s2
	s_mul_i32 s29, s5, s3
	s_mov_b32 s5, 0
	s_branch .LBB63_17
.LBB63_16:                              ;   in Loop: Header=BB63_17 Depth=3
	v_add_nc_u32_e32 v19, s29, v7
	v_lshlrev_b64 v[9:10], 1, v[9:10]
	v_add_nc_u32_e32 v18, s27, v18
	v_ashrrev_i32_e32 v20, 31, v19
	v_add_co_u32 v9, vcc_lo, s14, v9
	v_add_co_ci_u32_e64 v10, null, s15, v10, vcc_lo
	v_lshlrev_b64 v[19:20], 1, v[19:20]
	v_add_co_u32 v19, vcc_lo, s20, v19
	v_add_co_ci_u32_e64 v20, null, s21, v20, vcc_lo
	v_add_co_u32 v7, vcc_lo, v7, 8
	global_load_ushort v9, v[9:10], off
	global_load_ushort v10, v[19:20], off
	v_add_co_ci_u32_e64 v8, null, 0, v8, vcc_lo
	v_cmp_le_i32_e32 vcc_lo, s3, v7
	s_or_b32 s5, vcc_lo, s5
	s_waitcnt vmcnt(1)
	v_lshlrev_b32_e32 v9, 16, v9
	s_waitcnt vmcnt(0)
	v_lshlrev_b32_e32 v10, 16, v10
	v_fmac_f32_e32 v15, v9, v10
	s_andn2_b32 exec_lo, exec_lo, s5
	s_cbranch_execz .LBB63_12
.LBB63_17:                              ;   Parent Loop BB63_10 Depth=1
                                        ;     Parent Loop BB63_14 Depth=2
                                        ; =>    This Inner Loop Header: Depth=3
	s_and_b32 vcc_lo, exec_lo, s24
	s_cbranch_vccz .LBB63_19
; %bb.18:                               ;   in Loop: Header=BB63_17 Depth=3
	v_ashrrev_i32_e32 v10, 31, v18
	v_add_co_u32 v9, vcc_lo, v5, v18
	v_add_co_ci_u32_e64 v10, null, v6, v10, vcc_lo
	s_cbranch_execnz .LBB63_16
	s_branch .LBB63_20
.LBB63_19:                              ;   in Loop: Header=BB63_17 Depth=3
                                        ; implicit-def: $vgpr9_vgpr10
.LBB63_20:                              ;   in Loop: Header=BB63_17 Depth=3
	v_add_co_u32 v9, vcc_lo, v16, v7
	v_add_co_ci_u32_e64 v10, null, v17, v8, vcc_lo
	s_branch .LBB63_16
.LBB63_21:                              ;   in Loop: Header=BB63_10 Depth=1
	ds_bpermute_b32 v5, v12, v15
	s_waitcnt lgkmcnt(0)
	v_add_f32_e32 v5, v15, v5
	ds_bpermute_b32 v6, v13, v5
	s_waitcnt lgkmcnt(0)
	v_add_f32_e32 v5, v5, v6
	ds_bpermute_b32 v6, v14, v5
	s_and_saveexec_b32 s4, s1
	s_cbranch_execz .LBB63_9
; %bb.22:                               ;   in Loop: Header=BB63_10 Depth=1
	s_waitcnt lgkmcnt(0)
	v_add_f32_e32 v6, v5, v6
	v_add_nc_u32_e32 v5, s6, v1
	s_and_b32 vcc_lo, exec_lo, s10
	v_mul_f32_e32 v7, s16, v6
	v_ashrrev_i32_e32 v6, 31, v5
	s_cbranch_vccz .LBB63_24
; %bb.23:                               ;   in Loop: Header=BB63_10 Depth=1
	v_lshlrev_b64 v[8:9], 2, v[5:6]
	v_add_co_u32 v8, vcc_lo, s8, v8
	v_add_co_ci_u32_e64 v9, null, s9, v9, vcc_lo
	global_store_dword v[8:9], v7, off
	s_cbranch_execnz .LBB63_9
	s_branch .LBB63_25
.LBB63_24:                              ;   in Loop: Header=BB63_10 Depth=1
.LBB63_25:                              ;   in Loop: Header=BB63_10 Depth=1
	v_lshlrev_b64 v[5:6], 2, v[5:6]
	v_add_co_u32 v5, vcc_lo, s8, v5
	v_add_co_ci_u32_e64 v6, null, s9, v6, vcc_lo
	global_load_dword v8, v[5:6], off
	s_waitcnt vmcnt(0)
	v_fmac_f32_e32 v7, s18, v8
	global_store_dword v[5:6], v7, off
	s_branch .LBB63_9
.LBB63_26:
	s_endpgm
	.section	.rodata,"a",@progbits
	.p2align	6, 0x0
	.amdhsa_kernel _ZN9rocsparseL22bsrxmvn_general_kernelILj64ELj8Efii18rocsparse_bfloat16S1_fEEv20rocsparse_direction_NS_24const_host_device_scalarIT1_EET3_PKS6_PKT2_SB_S8_PKT4_S6_PKT5_S5_PT6_21rocsparse_index_base_b
		.amdhsa_group_segment_fixed_size 0
		.amdhsa_private_segment_fixed_size 0
		.amdhsa_kernarg_size 104
		.amdhsa_user_sgpr_count 6
		.amdhsa_user_sgpr_private_segment_buffer 1
		.amdhsa_user_sgpr_dispatch_ptr 0
		.amdhsa_user_sgpr_queue_ptr 0
		.amdhsa_user_sgpr_kernarg_segment_ptr 1
		.amdhsa_user_sgpr_dispatch_id 0
		.amdhsa_user_sgpr_flat_scratch_init 0
		.amdhsa_user_sgpr_private_segment_size 0
		.amdhsa_wavefront_size32 1
		.amdhsa_uses_dynamic_stack 0
		.amdhsa_system_sgpr_private_segment_wavefront_offset 0
		.amdhsa_system_sgpr_workgroup_id_x 1
		.amdhsa_system_sgpr_workgroup_id_y 0
		.amdhsa_system_sgpr_workgroup_id_z 0
		.amdhsa_system_sgpr_workgroup_info 0
		.amdhsa_system_vgpr_workitem_id 0
		.amdhsa_next_free_vgpr 21
		.amdhsa_next_free_sgpr 32
		.amdhsa_reserve_vcc 1
		.amdhsa_reserve_flat_scratch 0
		.amdhsa_float_round_mode_32 0
		.amdhsa_float_round_mode_16_64 0
		.amdhsa_float_denorm_mode_32 3
		.amdhsa_float_denorm_mode_16_64 3
		.amdhsa_dx10_clamp 1
		.amdhsa_ieee_mode 1
		.amdhsa_fp16_overflow 0
		.amdhsa_workgroup_processor_mode 1
		.amdhsa_memory_ordered 1
		.amdhsa_forward_progress 1
		.amdhsa_shared_vgpr_count 0
		.amdhsa_exception_fp_ieee_invalid_op 0
		.amdhsa_exception_fp_denorm_src 0
		.amdhsa_exception_fp_ieee_div_zero 0
		.amdhsa_exception_fp_ieee_overflow 0
		.amdhsa_exception_fp_ieee_underflow 0
		.amdhsa_exception_fp_ieee_inexact 0
		.amdhsa_exception_int_div_zero 0
	.end_amdhsa_kernel
	.section	.text._ZN9rocsparseL22bsrxmvn_general_kernelILj64ELj8Efii18rocsparse_bfloat16S1_fEEv20rocsparse_direction_NS_24const_host_device_scalarIT1_EET3_PKS6_PKT2_SB_S8_PKT4_S6_PKT5_S5_PT6_21rocsparse_index_base_b,"axG",@progbits,_ZN9rocsparseL22bsrxmvn_general_kernelILj64ELj8Efii18rocsparse_bfloat16S1_fEEv20rocsparse_direction_NS_24const_host_device_scalarIT1_EET3_PKS6_PKT2_SB_S8_PKT4_S6_PKT5_S5_PT6_21rocsparse_index_base_b,comdat
.Lfunc_end63:
	.size	_ZN9rocsparseL22bsrxmvn_general_kernelILj64ELj8Efii18rocsparse_bfloat16S1_fEEv20rocsparse_direction_NS_24const_host_device_scalarIT1_EET3_PKS6_PKT2_SB_S8_PKT4_S6_PKT5_S5_PT6_21rocsparse_index_base_b, .Lfunc_end63-_ZN9rocsparseL22bsrxmvn_general_kernelILj64ELj8Efii18rocsparse_bfloat16S1_fEEv20rocsparse_direction_NS_24const_host_device_scalarIT1_EET3_PKS6_PKT2_SB_S8_PKT4_S6_PKT5_S5_PT6_21rocsparse_index_base_b
                                        ; -- End function
	.set _ZN9rocsparseL22bsrxmvn_general_kernelILj64ELj8Efii18rocsparse_bfloat16S1_fEEv20rocsparse_direction_NS_24const_host_device_scalarIT1_EET3_PKS6_PKT2_SB_S8_PKT4_S6_PKT5_S5_PT6_21rocsparse_index_base_b.num_vgpr, 21
	.set _ZN9rocsparseL22bsrxmvn_general_kernelILj64ELj8Efii18rocsparse_bfloat16S1_fEEv20rocsparse_direction_NS_24const_host_device_scalarIT1_EET3_PKS6_PKT2_SB_S8_PKT4_S6_PKT5_S5_PT6_21rocsparse_index_base_b.num_agpr, 0
	.set _ZN9rocsparseL22bsrxmvn_general_kernelILj64ELj8Efii18rocsparse_bfloat16S1_fEEv20rocsparse_direction_NS_24const_host_device_scalarIT1_EET3_PKS6_PKT2_SB_S8_PKT4_S6_PKT5_S5_PT6_21rocsparse_index_base_b.numbered_sgpr, 32
	.set _ZN9rocsparseL22bsrxmvn_general_kernelILj64ELj8Efii18rocsparse_bfloat16S1_fEEv20rocsparse_direction_NS_24const_host_device_scalarIT1_EET3_PKS6_PKT2_SB_S8_PKT4_S6_PKT5_S5_PT6_21rocsparse_index_base_b.num_named_barrier, 0
	.set _ZN9rocsparseL22bsrxmvn_general_kernelILj64ELj8Efii18rocsparse_bfloat16S1_fEEv20rocsparse_direction_NS_24const_host_device_scalarIT1_EET3_PKS6_PKT2_SB_S8_PKT4_S6_PKT5_S5_PT6_21rocsparse_index_base_b.private_seg_size, 0
	.set _ZN9rocsparseL22bsrxmvn_general_kernelILj64ELj8Efii18rocsparse_bfloat16S1_fEEv20rocsparse_direction_NS_24const_host_device_scalarIT1_EET3_PKS6_PKT2_SB_S8_PKT4_S6_PKT5_S5_PT6_21rocsparse_index_base_b.uses_vcc, 1
	.set _ZN9rocsparseL22bsrxmvn_general_kernelILj64ELj8Efii18rocsparse_bfloat16S1_fEEv20rocsparse_direction_NS_24const_host_device_scalarIT1_EET3_PKS6_PKT2_SB_S8_PKT4_S6_PKT5_S5_PT6_21rocsparse_index_base_b.uses_flat_scratch, 0
	.set _ZN9rocsparseL22bsrxmvn_general_kernelILj64ELj8Efii18rocsparse_bfloat16S1_fEEv20rocsparse_direction_NS_24const_host_device_scalarIT1_EET3_PKS6_PKT2_SB_S8_PKT4_S6_PKT5_S5_PT6_21rocsparse_index_base_b.has_dyn_sized_stack, 0
	.set _ZN9rocsparseL22bsrxmvn_general_kernelILj64ELj8Efii18rocsparse_bfloat16S1_fEEv20rocsparse_direction_NS_24const_host_device_scalarIT1_EET3_PKS6_PKT2_SB_S8_PKT4_S6_PKT5_S5_PT6_21rocsparse_index_base_b.has_recursion, 0
	.set _ZN9rocsparseL22bsrxmvn_general_kernelILj64ELj8Efii18rocsparse_bfloat16S1_fEEv20rocsparse_direction_NS_24const_host_device_scalarIT1_EET3_PKS6_PKT2_SB_S8_PKT4_S6_PKT5_S5_PT6_21rocsparse_index_base_b.has_indirect_call, 0
	.section	.AMDGPU.csdata,"",@progbits
; Kernel info:
; codeLenInByte = 1040
; TotalNumSgprs: 34
; NumVgprs: 21
; ScratchSize: 0
; MemoryBound: 0
; FloatMode: 240
; IeeeMode: 1
; LDSByteSize: 0 bytes/workgroup (compile time only)
; SGPRBlocks: 0
; VGPRBlocks: 2
; NumSGPRsForWavesPerEU: 34
; NumVGPRsForWavesPerEU: 21
; Occupancy: 16
; WaveLimiterHint : 1
; COMPUTE_PGM_RSRC2:SCRATCH_EN: 0
; COMPUTE_PGM_RSRC2:USER_SGPR: 6
; COMPUTE_PGM_RSRC2:TRAP_HANDLER: 0
; COMPUTE_PGM_RSRC2:TGID_X_EN: 1
; COMPUTE_PGM_RSRC2:TGID_Y_EN: 0
; COMPUTE_PGM_RSRC2:TGID_Z_EN: 0
; COMPUTE_PGM_RSRC2:TIDIG_COMP_CNT: 0
	.section	.text._ZN9rocsparseL22bsrxmvn_general_kernelILj256ELj16Efii18rocsparse_bfloat16S1_fEEv20rocsparse_direction_NS_24const_host_device_scalarIT1_EET3_PKS6_PKT2_SB_S8_PKT4_S6_PKT5_S5_PT6_21rocsparse_index_base_b,"axG",@progbits,_ZN9rocsparseL22bsrxmvn_general_kernelILj256ELj16Efii18rocsparse_bfloat16S1_fEEv20rocsparse_direction_NS_24const_host_device_scalarIT1_EET3_PKS6_PKT2_SB_S8_PKT4_S6_PKT5_S5_PT6_21rocsparse_index_base_b,comdat
	.globl	_ZN9rocsparseL22bsrxmvn_general_kernelILj256ELj16Efii18rocsparse_bfloat16S1_fEEv20rocsparse_direction_NS_24const_host_device_scalarIT1_EET3_PKS6_PKT2_SB_S8_PKT4_S6_PKT5_S5_PT6_21rocsparse_index_base_b ; -- Begin function _ZN9rocsparseL22bsrxmvn_general_kernelILj256ELj16Efii18rocsparse_bfloat16S1_fEEv20rocsparse_direction_NS_24const_host_device_scalarIT1_EET3_PKS6_PKT2_SB_S8_PKT4_S6_PKT5_S5_PT6_21rocsparse_index_base_b
	.p2align	8
	.type	_ZN9rocsparseL22bsrxmvn_general_kernelILj256ELj16Efii18rocsparse_bfloat16S1_fEEv20rocsparse_direction_NS_24const_host_device_scalarIT1_EET3_PKS6_PKT2_SB_S8_PKT4_S6_PKT5_S5_PT6_21rocsparse_index_base_b,@function
_ZN9rocsparseL22bsrxmvn_general_kernelILj256ELj16Efii18rocsparse_bfloat16S1_fEEv20rocsparse_direction_NS_24const_host_device_scalarIT1_EET3_PKS6_PKT2_SB_S8_PKT4_S6_PKT5_S5_PT6_21rocsparse_index_base_b: ; @_ZN9rocsparseL22bsrxmvn_general_kernelILj256ELj16Efii18rocsparse_bfloat16S1_fEEv20rocsparse_direction_NS_24const_host_device_scalarIT1_EET3_PKS6_PKT2_SB_S8_PKT4_S6_PKT5_S5_PT6_21rocsparse_index_base_b
; %bb.0:
	s_clause 0x2
	s_load_dwordx2 s[2:3], s[4:5], 0x60
	s_load_dwordx2 s[16:17], s[4:5], 0x8
	;; [unrolled: 1-line block ×3, first 2 shown]
	s_waitcnt lgkmcnt(0)
	s_bitcmp1_b32 s3, 0
	s_cselect_b32 s0, -1, 0
	s_and_b32 vcc_lo, exec_lo, s0
	s_xor_b32 s0, s0, -1
	s_cbranch_vccnz .LBB64_2
; %bb.1:
	s_load_dword s16, s[16:17], 0x0
.LBB64_2:
	s_andn2_b32 vcc_lo, exec_lo, s0
	s_cbranch_vccnz .LBB64_4
; %bb.3:
	s_load_dword s18, s[18:19], 0x0
.LBB64_4:
	s_waitcnt lgkmcnt(0)
	v_cmp_neq_f32_e64 s0, s16, 0
	v_cmp_neq_f32_e64 s1, s18, 1.0
	s_or_b32 s0, s0, s1
	s_andn2_b32 vcc_lo, exec_lo, s0
	s_cbranch_vccnz .LBB64_26
; %bb.5:
	s_load_dwordx2 s[0:1], s[4:5], 0x18
	s_waitcnt lgkmcnt(0)
	s_cmp_eq_u64 s[0:1], 0
	s_cbranch_scc1 .LBB64_7
; %bb.6:
	s_ashr_i32 s7, s6, 31
	s_lshl_b64 s[6:7], s[6:7], 2
	s_add_u32 s0, s0, s6
	s_addc_u32 s1, s1, s7
	s_load_dword s0, s[0:1], 0x0
	s_waitcnt lgkmcnt(0)
	s_sub_i32 s6, s0, s2
.LBB64_7:
	s_load_dword s3, s[4:5], 0x40
	v_lshrrev_b32_e32 v1, 4, v0
	s_mov_b32 s0, exec_lo
	s_waitcnt lgkmcnt(0)
	v_cmpx_gt_i32_e64 s3, v1
	s_cbranch_execz .LBB64_26
; %bb.8:
	s_load_dwordx8 s[8:15], s[4:5], 0x20
	s_ashr_i32 s7, s6, 31
	v_mbcnt_lo_u32_b32 v5, -1, 0
	s_lshl_b64 s[0:1], s[6:7], 2
	s_load_dword s27, s[4:5], 0x0
	v_and_b32_e32 v3, 15, v0
	v_mov_b32_e32 v2, 0
	v_xor_b32_e32 v6, 8, v5
	v_xor_b32_e32 v7, 4, v5
	;; [unrolled: 1-line block ×4, first 2 shown]
	s_mul_hi_u32 s17, s3, s3
	v_cmp_gt_i32_e32 vcc_lo, 32, v6
	s_mul_i32 s19, s3, s3
	v_mul_lo_u32 v0, s3, v1
	v_mul_lo_u32 v11, s3, v3
	v_cmp_eq_f32_e64 s22, s18, 0
	v_cndmask_b32_e32 v6, v5, v6, vcc_lo
	v_cmp_gt_i32_e32 vcc_lo, 32, v7
	v_mov_b32_e32 v4, v2
	s_waitcnt lgkmcnt(0)
	s_add_u32 s24, s8, s0
	s_addc_u32 s25, s9, s1
	v_lshlrev_b32_e32 v12, 2, v6
	s_load_dword s26, s[24:25], 0x0
	s_clause 0x1
	s_load_dwordx2 s[8:9], s[4:5], 0x58
	s_load_dwordx2 s[20:21], s[4:5], 0x48
	v_cndmask_b32_e32 v7, v5, v7, vcc_lo
	v_cmp_gt_i32_e32 vcc_lo, 32, v8
	s_mov_b32 s7, 0
	s_mul_i32 s6, s6, s3
	v_lshlrev_b32_e32 v13, 2, v7
	v_cndmask_b32_e32 v8, v5, v8, vcc_lo
	v_cmp_gt_i32_e32 vcc_lo, 32, v9
	v_lshlrev_b32_e32 v14, 2, v8
	v_cndmask_b32_e32 v5, v5, v9, vcc_lo
	v_lshlrev_b32_e32 v15, 2, v5
	s_waitcnt lgkmcnt(0)
	s_sub_i32 s23, s26, s2
	s_add_u32 s4, s24, 4
	s_addc_u32 s5, s25, 0
	s_add_u32 s24, s10, s0
	s_addc_u32 s1, s11, s1
	s_cmp_eq_u64 s[10:11], 0
	v_cmp_gt_u32_e64 s0, s3, v3
	s_cselect_b32 s5, s5, s1
	s_cselect_b32 s4, s4, s24
	v_cmp_eq_u32_e64 s1, 15, v3
	s_load_dword s4, s[4:5], 0x0
	s_mul_i32 s5, s23, s17
	s_waitcnt lgkmcnt(0)
	s_sub_i32 s10, s4, s2
	s_cmp_lt_i32 s26, s4
	s_mul_hi_u32 s4, s23, s19
	s_cselect_b32 s11, -1, 0
	s_cmp_lg_u32 s27, 0
	s_cselect_b32 s24, -1, 0
	s_ashr_i32 s25, s23, 31
	s_add_i32 s4, s4, s5
	s_mul_i32 s5, s25, s19
	s_mul_i32 s25, s23, s19
	s_add_i32 s26, s4, s5
	s_lshl_b32 s27, s3, 4
	s_branch .LBB64_10
.LBB64_9:                               ;   in Loop: Header=BB64_10 Depth=1
	s_or_b32 exec_lo, exec_lo, s4
	v_add_nc_u32_e32 v1, 16, v1
	v_add_nc_u32_e32 v0, s27, v0
	v_cmp_le_i32_e32 vcc_lo, s3, v1
	s_or_b32 s7, vcc_lo, s7
	s_andn2_b32 exec_lo, exec_lo, s7
	s_cbranch_execz .LBB64_26
.LBB64_10:                              ; =>This Loop Header: Depth=1
                                        ;     Child Loop BB64_14 Depth 2
                                        ;       Child Loop BB64_17 Depth 3
	v_mov_b32_e32 v16, 0
	s_andn2_b32 vcc_lo, exec_lo, s11
	s_cbranch_vccnz .LBB64_21
; %bb.11:                               ;   in Loop: Header=BB64_10 Depth=1
	v_ashrrev_i32_e32 v5, 31, v0
	v_add_co_u32 v17, vcc_lo, s25, v0
	v_mov_b32_e32 v16, 0
	s_mov_b32 s4, s23
	v_add_co_ci_u32_e64 v18, null, s26, v5, vcc_lo
	s_branch .LBB64_14
.LBB64_12:                              ;   in Loop: Header=BB64_14 Depth=2
	s_or_b32 exec_lo, exec_lo, s5
.LBB64_13:                              ;   in Loop: Header=BB64_14 Depth=2
	s_or_b32 exec_lo, exec_lo, s28
	v_add_co_u32 v17, vcc_lo, v17, s19
	v_add_co_ci_u32_e64 v18, null, s17, v18, vcc_lo
	s_add_i32 s4, s4, 1
	s_cmp_ge_i32 s4, s10
	s_cbranch_scc1 .LBB64_21
.LBB64_14:                              ;   Parent Loop BB64_10 Depth=1
                                        ; =>  This Loop Header: Depth=2
                                        ;       Child Loop BB64_17 Depth 3
	s_and_saveexec_b32 s28, s0
	s_cbranch_execz .LBB64_13
; %bb.15:                               ;   in Loop: Header=BB64_14 Depth=2
	s_ashr_i32 s5, s4, 31
	s_waitcnt lgkmcnt(0)
	v_mad_u64_u32 v[5:6], null, s19, s4, v[1:2]
	s_lshl_b64 s[30:31], s[4:5], 2
	s_mul_i32 s5, s19, s5
	s_add_u32 s30, s12, s30
	s_addc_u32 s31, s13, s31
	v_mov_b32_e32 v8, v4
	s_load_dword s29, s[30:31], 0x0
	s_mul_i32 s30, s17, s4
	v_mov_b32_e32 v19, v11
	v_mov_b32_e32 v7, v3
	v_add3_u32 v6, s5, s30, v6
	s_waitcnt lgkmcnt(0)
	s_sub_i32 s5, s29, s2
	s_mul_i32 s29, s5, s3
	s_mov_b32 s5, 0
	s_branch .LBB64_17
.LBB64_16:                              ;   in Loop: Header=BB64_17 Depth=3
	v_add_nc_u32_e32 v20, s29, v7
	v_lshlrev_b64 v[9:10], 1, v[9:10]
	v_add_nc_u32_e32 v19, s27, v19
	v_ashrrev_i32_e32 v21, 31, v20
	v_add_co_u32 v9, vcc_lo, s14, v9
	v_add_co_ci_u32_e64 v10, null, s15, v10, vcc_lo
	v_lshlrev_b64 v[20:21], 1, v[20:21]
	v_add_co_u32 v20, vcc_lo, s20, v20
	v_add_co_ci_u32_e64 v21, null, s21, v21, vcc_lo
	v_add_co_u32 v7, vcc_lo, v7, 16
	global_load_ushort v9, v[9:10], off
	global_load_ushort v10, v[20:21], off
	v_add_co_ci_u32_e64 v8, null, 0, v8, vcc_lo
	v_cmp_le_i32_e32 vcc_lo, s3, v7
	s_or_b32 s5, vcc_lo, s5
	s_waitcnt vmcnt(1)
	v_lshlrev_b32_e32 v9, 16, v9
	s_waitcnt vmcnt(0)
	v_lshlrev_b32_e32 v10, 16, v10
	v_fmac_f32_e32 v16, v9, v10
	s_andn2_b32 exec_lo, exec_lo, s5
	s_cbranch_execz .LBB64_12
.LBB64_17:                              ;   Parent Loop BB64_10 Depth=1
                                        ;     Parent Loop BB64_14 Depth=2
                                        ; =>    This Inner Loop Header: Depth=3
	s_and_b32 vcc_lo, exec_lo, s24
	s_cbranch_vccz .LBB64_19
; %bb.18:                               ;   in Loop: Header=BB64_17 Depth=3
	v_ashrrev_i32_e32 v10, 31, v19
	v_add_co_u32 v9, vcc_lo, v5, v19
	v_add_co_ci_u32_e64 v10, null, v6, v10, vcc_lo
	s_cbranch_execnz .LBB64_16
	s_branch .LBB64_20
.LBB64_19:                              ;   in Loop: Header=BB64_17 Depth=3
                                        ; implicit-def: $vgpr9_vgpr10
.LBB64_20:                              ;   in Loop: Header=BB64_17 Depth=3
	v_add_co_u32 v9, vcc_lo, v17, v7
	v_add_co_ci_u32_e64 v10, null, v18, v8, vcc_lo
	s_branch .LBB64_16
.LBB64_21:                              ;   in Loop: Header=BB64_10 Depth=1
	ds_bpermute_b32 v5, v12, v16
	s_waitcnt lgkmcnt(0)
	v_add_f32_e32 v5, v16, v5
	ds_bpermute_b32 v6, v13, v5
	s_waitcnt lgkmcnt(0)
	v_add_f32_e32 v5, v5, v6
	;; [unrolled: 3-line block ×3, first 2 shown]
	ds_bpermute_b32 v6, v15, v5
	s_and_saveexec_b32 s4, s1
	s_cbranch_execz .LBB64_9
; %bb.22:                               ;   in Loop: Header=BB64_10 Depth=1
	s_waitcnt lgkmcnt(0)
	v_add_f32_e32 v6, v5, v6
	v_add_nc_u32_e32 v5, s6, v1
	s_and_b32 vcc_lo, exec_lo, s22
	v_mul_f32_e32 v7, s16, v6
	v_ashrrev_i32_e32 v6, 31, v5
	s_cbranch_vccz .LBB64_24
; %bb.23:                               ;   in Loop: Header=BB64_10 Depth=1
	v_lshlrev_b64 v[8:9], 2, v[5:6]
	v_add_co_u32 v8, vcc_lo, s8, v8
	v_add_co_ci_u32_e64 v9, null, s9, v9, vcc_lo
	global_store_dword v[8:9], v7, off
	s_cbranch_execnz .LBB64_9
	s_branch .LBB64_25
.LBB64_24:                              ;   in Loop: Header=BB64_10 Depth=1
.LBB64_25:                              ;   in Loop: Header=BB64_10 Depth=1
	v_lshlrev_b64 v[5:6], 2, v[5:6]
	v_add_co_u32 v5, vcc_lo, s8, v5
	v_add_co_ci_u32_e64 v6, null, s9, v6, vcc_lo
	global_load_dword v8, v[5:6], off
	s_waitcnt vmcnt(0)
	v_fmac_f32_e32 v7, s18, v8
	global_store_dword v[5:6], v7, off
	s_branch .LBB64_9
.LBB64_26:
	s_endpgm
	.section	.rodata,"a",@progbits
	.p2align	6, 0x0
	.amdhsa_kernel _ZN9rocsparseL22bsrxmvn_general_kernelILj256ELj16Efii18rocsparse_bfloat16S1_fEEv20rocsparse_direction_NS_24const_host_device_scalarIT1_EET3_PKS6_PKT2_SB_S8_PKT4_S6_PKT5_S5_PT6_21rocsparse_index_base_b
		.amdhsa_group_segment_fixed_size 0
		.amdhsa_private_segment_fixed_size 0
		.amdhsa_kernarg_size 104
		.amdhsa_user_sgpr_count 6
		.amdhsa_user_sgpr_private_segment_buffer 1
		.amdhsa_user_sgpr_dispatch_ptr 0
		.amdhsa_user_sgpr_queue_ptr 0
		.amdhsa_user_sgpr_kernarg_segment_ptr 1
		.amdhsa_user_sgpr_dispatch_id 0
		.amdhsa_user_sgpr_flat_scratch_init 0
		.amdhsa_user_sgpr_private_segment_size 0
		.amdhsa_wavefront_size32 1
		.amdhsa_uses_dynamic_stack 0
		.amdhsa_system_sgpr_private_segment_wavefront_offset 0
		.amdhsa_system_sgpr_workgroup_id_x 1
		.amdhsa_system_sgpr_workgroup_id_y 0
		.amdhsa_system_sgpr_workgroup_id_z 0
		.amdhsa_system_sgpr_workgroup_info 0
		.amdhsa_system_vgpr_workitem_id 0
		.amdhsa_next_free_vgpr 22
		.amdhsa_next_free_sgpr 32
		.amdhsa_reserve_vcc 1
		.amdhsa_reserve_flat_scratch 0
		.amdhsa_float_round_mode_32 0
		.amdhsa_float_round_mode_16_64 0
		.amdhsa_float_denorm_mode_32 3
		.amdhsa_float_denorm_mode_16_64 3
		.amdhsa_dx10_clamp 1
		.amdhsa_ieee_mode 1
		.amdhsa_fp16_overflow 0
		.amdhsa_workgroup_processor_mode 1
		.amdhsa_memory_ordered 1
		.amdhsa_forward_progress 1
		.amdhsa_shared_vgpr_count 0
		.amdhsa_exception_fp_ieee_invalid_op 0
		.amdhsa_exception_fp_denorm_src 0
		.amdhsa_exception_fp_ieee_div_zero 0
		.amdhsa_exception_fp_ieee_overflow 0
		.amdhsa_exception_fp_ieee_underflow 0
		.amdhsa_exception_fp_ieee_inexact 0
		.amdhsa_exception_int_div_zero 0
	.end_amdhsa_kernel
	.section	.text._ZN9rocsparseL22bsrxmvn_general_kernelILj256ELj16Efii18rocsparse_bfloat16S1_fEEv20rocsparse_direction_NS_24const_host_device_scalarIT1_EET3_PKS6_PKT2_SB_S8_PKT4_S6_PKT5_S5_PT6_21rocsparse_index_base_b,"axG",@progbits,_ZN9rocsparseL22bsrxmvn_general_kernelILj256ELj16Efii18rocsparse_bfloat16S1_fEEv20rocsparse_direction_NS_24const_host_device_scalarIT1_EET3_PKS6_PKT2_SB_S8_PKT4_S6_PKT5_S5_PT6_21rocsparse_index_base_b,comdat
.Lfunc_end64:
	.size	_ZN9rocsparseL22bsrxmvn_general_kernelILj256ELj16Efii18rocsparse_bfloat16S1_fEEv20rocsparse_direction_NS_24const_host_device_scalarIT1_EET3_PKS6_PKT2_SB_S8_PKT4_S6_PKT5_S5_PT6_21rocsparse_index_base_b, .Lfunc_end64-_ZN9rocsparseL22bsrxmvn_general_kernelILj256ELj16Efii18rocsparse_bfloat16S1_fEEv20rocsparse_direction_NS_24const_host_device_scalarIT1_EET3_PKS6_PKT2_SB_S8_PKT4_S6_PKT5_S5_PT6_21rocsparse_index_base_b
                                        ; -- End function
	.set _ZN9rocsparseL22bsrxmvn_general_kernelILj256ELj16Efii18rocsparse_bfloat16S1_fEEv20rocsparse_direction_NS_24const_host_device_scalarIT1_EET3_PKS6_PKT2_SB_S8_PKT4_S6_PKT5_S5_PT6_21rocsparse_index_base_b.num_vgpr, 22
	.set _ZN9rocsparseL22bsrxmvn_general_kernelILj256ELj16Efii18rocsparse_bfloat16S1_fEEv20rocsparse_direction_NS_24const_host_device_scalarIT1_EET3_PKS6_PKT2_SB_S8_PKT4_S6_PKT5_S5_PT6_21rocsparse_index_base_b.num_agpr, 0
	.set _ZN9rocsparseL22bsrxmvn_general_kernelILj256ELj16Efii18rocsparse_bfloat16S1_fEEv20rocsparse_direction_NS_24const_host_device_scalarIT1_EET3_PKS6_PKT2_SB_S8_PKT4_S6_PKT5_S5_PT6_21rocsparse_index_base_b.numbered_sgpr, 32
	.set _ZN9rocsparseL22bsrxmvn_general_kernelILj256ELj16Efii18rocsparse_bfloat16S1_fEEv20rocsparse_direction_NS_24const_host_device_scalarIT1_EET3_PKS6_PKT2_SB_S8_PKT4_S6_PKT5_S5_PT6_21rocsparse_index_base_b.num_named_barrier, 0
	.set _ZN9rocsparseL22bsrxmvn_general_kernelILj256ELj16Efii18rocsparse_bfloat16S1_fEEv20rocsparse_direction_NS_24const_host_device_scalarIT1_EET3_PKS6_PKT2_SB_S8_PKT4_S6_PKT5_S5_PT6_21rocsparse_index_base_b.private_seg_size, 0
	.set _ZN9rocsparseL22bsrxmvn_general_kernelILj256ELj16Efii18rocsparse_bfloat16S1_fEEv20rocsparse_direction_NS_24const_host_device_scalarIT1_EET3_PKS6_PKT2_SB_S8_PKT4_S6_PKT5_S5_PT6_21rocsparse_index_base_b.uses_vcc, 1
	.set _ZN9rocsparseL22bsrxmvn_general_kernelILj256ELj16Efii18rocsparse_bfloat16S1_fEEv20rocsparse_direction_NS_24const_host_device_scalarIT1_EET3_PKS6_PKT2_SB_S8_PKT4_S6_PKT5_S5_PT6_21rocsparse_index_base_b.uses_flat_scratch, 0
	.set _ZN9rocsparseL22bsrxmvn_general_kernelILj256ELj16Efii18rocsparse_bfloat16S1_fEEv20rocsparse_direction_NS_24const_host_device_scalarIT1_EET3_PKS6_PKT2_SB_S8_PKT4_S6_PKT5_S5_PT6_21rocsparse_index_base_b.has_dyn_sized_stack, 0
	.set _ZN9rocsparseL22bsrxmvn_general_kernelILj256ELj16Efii18rocsparse_bfloat16S1_fEEv20rocsparse_direction_NS_24const_host_device_scalarIT1_EET3_PKS6_PKT2_SB_S8_PKT4_S6_PKT5_S5_PT6_21rocsparse_index_base_b.has_recursion, 0
	.set _ZN9rocsparseL22bsrxmvn_general_kernelILj256ELj16Efii18rocsparse_bfloat16S1_fEEv20rocsparse_direction_NS_24const_host_device_scalarIT1_EET3_PKS6_PKT2_SB_S8_PKT4_S6_PKT5_S5_PT6_21rocsparse_index_base_b.has_indirect_call, 0
	.section	.AMDGPU.csdata,"",@progbits
; Kernel info:
; codeLenInByte = 1072
; TotalNumSgprs: 34
; NumVgprs: 22
; ScratchSize: 0
; MemoryBound: 0
; FloatMode: 240
; IeeeMode: 1
; LDSByteSize: 0 bytes/workgroup (compile time only)
; SGPRBlocks: 0
; VGPRBlocks: 2
; NumSGPRsForWavesPerEU: 34
; NumVGPRsForWavesPerEU: 22
; Occupancy: 16
; WaveLimiterHint : 1
; COMPUTE_PGM_RSRC2:SCRATCH_EN: 0
; COMPUTE_PGM_RSRC2:USER_SGPR: 6
; COMPUTE_PGM_RSRC2:TRAP_HANDLER: 0
; COMPUTE_PGM_RSRC2:TGID_X_EN: 1
; COMPUTE_PGM_RSRC2:TGID_Y_EN: 0
; COMPUTE_PGM_RSRC2:TGID_Z_EN: 0
; COMPUTE_PGM_RSRC2:TIDIG_COMP_CNT: 0
	.section	.text._ZN9rocsparseL22bsrxmvn_general_kernelILj1024ELj32Efii18rocsparse_bfloat16S1_fEEv20rocsparse_direction_NS_24const_host_device_scalarIT1_EET3_PKS6_PKT2_SB_S8_PKT4_S6_PKT5_S5_PT6_21rocsparse_index_base_b,"axG",@progbits,_ZN9rocsparseL22bsrxmvn_general_kernelILj1024ELj32Efii18rocsparse_bfloat16S1_fEEv20rocsparse_direction_NS_24const_host_device_scalarIT1_EET3_PKS6_PKT2_SB_S8_PKT4_S6_PKT5_S5_PT6_21rocsparse_index_base_b,comdat
	.globl	_ZN9rocsparseL22bsrxmvn_general_kernelILj1024ELj32Efii18rocsparse_bfloat16S1_fEEv20rocsparse_direction_NS_24const_host_device_scalarIT1_EET3_PKS6_PKT2_SB_S8_PKT4_S6_PKT5_S5_PT6_21rocsparse_index_base_b ; -- Begin function _ZN9rocsparseL22bsrxmvn_general_kernelILj1024ELj32Efii18rocsparse_bfloat16S1_fEEv20rocsparse_direction_NS_24const_host_device_scalarIT1_EET3_PKS6_PKT2_SB_S8_PKT4_S6_PKT5_S5_PT6_21rocsparse_index_base_b
	.p2align	8
	.type	_ZN9rocsparseL22bsrxmvn_general_kernelILj1024ELj32Efii18rocsparse_bfloat16S1_fEEv20rocsparse_direction_NS_24const_host_device_scalarIT1_EET3_PKS6_PKT2_SB_S8_PKT4_S6_PKT5_S5_PT6_21rocsparse_index_base_b,@function
_ZN9rocsparseL22bsrxmvn_general_kernelILj1024ELj32Efii18rocsparse_bfloat16S1_fEEv20rocsparse_direction_NS_24const_host_device_scalarIT1_EET3_PKS6_PKT2_SB_S8_PKT4_S6_PKT5_S5_PT6_21rocsparse_index_base_b: ; @_ZN9rocsparseL22bsrxmvn_general_kernelILj1024ELj32Efii18rocsparse_bfloat16S1_fEEv20rocsparse_direction_NS_24const_host_device_scalarIT1_EET3_PKS6_PKT2_SB_S8_PKT4_S6_PKT5_S5_PT6_21rocsparse_index_base_b
; %bb.0:
	s_clause 0x2
	s_load_dwordx2 s[2:3], s[4:5], 0x60
	s_load_dwordx2 s[16:17], s[4:5], 0x8
	;; [unrolled: 1-line block ×3, first 2 shown]
	s_waitcnt lgkmcnt(0)
	s_bitcmp1_b32 s3, 0
	s_cselect_b32 s0, -1, 0
	s_and_b32 vcc_lo, exec_lo, s0
	s_xor_b32 s0, s0, -1
	s_cbranch_vccnz .LBB65_2
; %bb.1:
	s_load_dword s16, s[16:17], 0x0
.LBB65_2:
	s_andn2_b32 vcc_lo, exec_lo, s0
	s_cbranch_vccnz .LBB65_4
; %bb.3:
	s_load_dword s18, s[18:19], 0x0
.LBB65_4:
	s_waitcnt lgkmcnt(0)
	v_cmp_neq_f32_e64 s0, s16, 0
	v_cmp_neq_f32_e64 s1, s18, 1.0
	s_or_b32 s0, s0, s1
	s_andn2_b32 vcc_lo, exec_lo, s0
	s_cbranch_vccnz .LBB65_26
; %bb.5:
	s_load_dwordx2 s[0:1], s[4:5], 0x18
	s_waitcnt lgkmcnt(0)
	s_cmp_eq_u64 s[0:1], 0
	s_cbranch_scc1 .LBB65_7
; %bb.6:
	s_ashr_i32 s7, s6, 31
	s_lshl_b64 s[6:7], s[6:7], 2
	s_add_u32 s0, s0, s6
	s_addc_u32 s1, s1, s7
	s_load_dword s0, s[0:1], 0x0
	s_waitcnt lgkmcnt(0)
	s_sub_i32 s6, s0, s2
.LBB65_7:
	s_load_dword s3, s[4:5], 0x40
	v_lshrrev_b32_e32 v1, 5, v0
	s_mov_b32 s0, exec_lo
	s_waitcnt lgkmcnt(0)
	v_cmpx_gt_i32_e64 s3, v1
	s_cbranch_execz .LBB65_26
; %bb.8:
	s_load_dwordx8 s[8:15], s[4:5], 0x20
	s_ashr_i32 s7, s6, 31
	v_mbcnt_lo_u32_b32 v5, -1, 0
	s_lshl_b64 s[24:25], s[6:7], 2
	s_load_dword s29, s[4:5], 0x0
	v_and_b32_e32 v3, 31, v0
	v_mov_b32_e32 v2, 0
	v_xor_b32_e32 v6, 16, v5
	v_xor_b32_e32 v7, 8, v5
	;; [unrolled: 1-line block ×5, first 2 shown]
	v_cmp_gt_i32_e32 vcc_lo, 32, v6
	s_mul_hi_u32 s17, s3, s3
	s_mul_i32 s19, s3, s3
	v_mul_lo_u32 v0, s3, v1
	v_mul_lo_u32 v11, s3, v3
	v_cndmask_b32_e32 v6, v5, v6, vcc_lo
	v_cmp_gt_i32_e32 vcc_lo, 32, v7
	v_cmp_eq_f32_e64 s22, s18, 0
	s_waitcnt lgkmcnt(0)
	s_add_u32 s26, s8, s24
	s_addc_u32 s27, s9, s25
	v_cmp_gt_u32_e64 s0, s3, v3
	s_load_dword s28, s[26:27], 0x0
	s_clause 0x1
	s_load_dwordx2 s[8:9], s[4:5], 0x58
	s_load_dwordx2 s[20:21], s[4:5], 0x48
	v_cndmask_b32_e32 v7, v5, v7, vcc_lo
	v_cmp_gt_i32_e32 vcc_lo, 32, v8
	v_mov_b32_e32 v4, v2
	v_lshlrev_b32_e32 v12, 2, v6
	s_mov_b32 s7, 0
	v_lshlrev_b32_e32 v13, 2, v7
	v_cndmask_b32_e32 v8, v5, v8, vcc_lo
	v_cmp_gt_i32_e32 vcc_lo, 32, v9
	s_mul_i32 s6, s6, s3
	v_lshlrev_b32_e32 v14, 2, v8
	v_cndmask_b32_e32 v9, v5, v9, vcc_lo
	v_cmp_gt_i32_e32 vcc_lo, 32, v10
	v_lshlrev_b32_e32 v15, 2, v9
	s_waitcnt lgkmcnt(0)
	s_sub_i32 s23, s28, s2
	s_add_u32 s1, s26, 4
	s_addc_u32 s4, s27, 0
	s_add_u32 s24, s10, s24
	s_addc_u32 s5, s11, s25
	s_cmp_eq_u64 s[10:11], 0
	v_cndmask_b32_e32 v5, v5, v10, vcc_lo
	s_cselect_b32 s5, s4, s5
	s_cselect_b32 s4, s1, s24
	v_cmp_eq_u32_e64 s1, 31, v3
	s_load_dword s4, s[4:5], 0x0
	s_mul_i32 s5, s23, s17
	v_lshlrev_b32_e32 v16, 2, v5
	s_waitcnt lgkmcnt(0)
	s_sub_i32 s10, s4, s2
	s_cmp_lt_i32 s28, s4
	s_mul_hi_u32 s4, s23, s19
	s_cselect_b32 s11, -1, 0
	s_cmp_lg_u32 s29, 0
	s_cselect_b32 s24, -1, 0
	s_ashr_i32 s25, s23, 31
	s_add_i32 s4, s4, s5
	s_mul_i32 s5, s25, s19
	s_mul_i32 s25, s23, s19
	s_add_i32 s26, s4, s5
	s_lshl_b32 s27, s3, 5
	s_branch .LBB65_10
.LBB65_9:                               ;   in Loop: Header=BB65_10 Depth=1
	s_or_b32 exec_lo, exec_lo, s4
	v_add_nc_u32_e32 v1, 32, v1
	v_add_nc_u32_e32 v0, s27, v0
	v_cmp_le_i32_e32 vcc_lo, s3, v1
	s_or_b32 s7, vcc_lo, s7
	s_andn2_b32 exec_lo, exec_lo, s7
	s_cbranch_execz .LBB65_26
.LBB65_10:                              ; =>This Loop Header: Depth=1
                                        ;     Child Loop BB65_14 Depth 2
                                        ;       Child Loop BB65_17 Depth 3
	v_mov_b32_e32 v17, 0
	s_andn2_b32 vcc_lo, exec_lo, s11
	s_cbranch_vccnz .LBB65_21
; %bb.11:                               ;   in Loop: Header=BB65_10 Depth=1
	v_ashrrev_i32_e32 v5, 31, v0
	v_add_co_u32 v18, vcc_lo, s25, v0
	v_mov_b32_e32 v17, 0
	s_mov_b32 s4, s23
	v_add_co_ci_u32_e64 v19, null, s26, v5, vcc_lo
	s_branch .LBB65_14
.LBB65_12:                              ;   in Loop: Header=BB65_14 Depth=2
	s_or_b32 exec_lo, exec_lo, s5
.LBB65_13:                              ;   in Loop: Header=BB65_14 Depth=2
	s_or_b32 exec_lo, exec_lo, s28
	v_add_co_u32 v18, vcc_lo, v18, s19
	v_add_co_ci_u32_e64 v19, null, s17, v19, vcc_lo
	s_add_i32 s4, s4, 1
	s_cmp_ge_i32 s4, s10
	s_cbranch_scc1 .LBB65_21
.LBB65_14:                              ;   Parent Loop BB65_10 Depth=1
                                        ; =>  This Loop Header: Depth=2
                                        ;       Child Loop BB65_17 Depth 3
	s_and_saveexec_b32 s28, s0
	s_cbranch_execz .LBB65_13
; %bb.15:                               ;   in Loop: Header=BB65_14 Depth=2
	s_ashr_i32 s5, s4, 31
	s_waitcnt lgkmcnt(0)
	v_mad_u64_u32 v[5:6], null, s19, s4, v[1:2]
	s_lshl_b64 s[30:31], s[4:5], 2
	s_mul_i32 s5, s19, s5
	s_add_u32 s30, s12, s30
	s_addc_u32 s31, s13, s31
	v_mov_b32_e32 v8, v4
	s_load_dword s29, s[30:31], 0x0
	s_mul_i32 s30, s17, s4
	v_mov_b32_e32 v20, v11
	v_mov_b32_e32 v7, v3
	v_add3_u32 v6, s5, s30, v6
	s_waitcnt lgkmcnt(0)
	s_sub_i32 s5, s29, s2
	s_mul_i32 s29, s5, s3
	s_mov_b32 s5, 0
	s_branch .LBB65_17
.LBB65_16:                              ;   in Loop: Header=BB65_17 Depth=3
	v_add_nc_u32_e32 v21, s29, v7
	v_lshlrev_b64 v[9:10], 1, v[9:10]
	v_add_nc_u32_e32 v20, s27, v20
	v_ashrrev_i32_e32 v22, 31, v21
	v_add_co_u32 v9, vcc_lo, s14, v9
	v_add_co_ci_u32_e64 v10, null, s15, v10, vcc_lo
	v_lshlrev_b64 v[21:22], 1, v[21:22]
	v_add_co_u32 v21, vcc_lo, s20, v21
	v_add_co_ci_u32_e64 v22, null, s21, v22, vcc_lo
	v_add_co_u32 v7, vcc_lo, v7, 32
	global_load_ushort v9, v[9:10], off
	global_load_ushort v10, v[21:22], off
	v_add_co_ci_u32_e64 v8, null, 0, v8, vcc_lo
	v_cmp_le_i32_e32 vcc_lo, s3, v7
	s_or_b32 s5, vcc_lo, s5
	s_waitcnt vmcnt(1)
	v_lshlrev_b32_e32 v9, 16, v9
	s_waitcnt vmcnt(0)
	v_lshlrev_b32_e32 v10, 16, v10
	v_fmac_f32_e32 v17, v9, v10
	s_andn2_b32 exec_lo, exec_lo, s5
	s_cbranch_execz .LBB65_12
.LBB65_17:                              ;   Parent Loop BB65_10 Depth=1
                                        ;     Parent Loop BB65_14 Depth=2
                                        ; =>    This Inner Loop Header: Depth=3
	s_and_b32 vcc_lo, exec_lo, s24
	s_cbranch_vccz .LBB65_19
; %bb.18:                               ;   in Loop: Header=BB65_17 Depth=3
	v_ashrrev_i32_e32 v10, 31, v20
	v_add_co_u32 v9, vcc_lo, v5, v20
	v_add_co_ci_u32_e64 v10, null, v6, v10, vcc_lo
	s_cbranch_execnz .LBB65_16
	s_branch .LBB65_20
.LBB65_19:                              ;   in Loop: Header=BB65_17 Depth=3
                                        ; implicit-def: $vgpr9_vgpr10
.LBB65_20:                              ;   in Loop: Header=BB65_17 Depth=3
	v_add_co_u32 v9, vcc_lo, v18, v7
	v_add_co_ci_u32_e64 v10, null, v19, v8, vcc_lo
	s_branch .LBB65_16
.LBB65_21:                              ;   in Loop: Header=BB65_10 Depth=1
	ds_bpermute_b32 v5, v12, v17
	s_waitcnt lgkmcnt(0)
	v_add_f32_e32 v5, v17, v5
	ds_bpermute_b32 v6, v13, v5
	s_waitcnt lgkmcnt(0)
	v_add_f32_e32 v5, v5, v6
	;; [unrolled: 3-line block ×4, first 2 shown]
	ds_bpermute_b32 v6, v16, v5
	s_and_saveexec_b32 s4, s1
	s_cbranch_execz .LBB65_9
; %bb.22:                               ;   in Loop: Header=BB65_10 Depth=1
	s_waitcnt lgkmcnt(0)
	v_add_f32_e32 v6, v5, v6
	v_add_nc_u32_e32 v5, s6, v1
	s_and_b32 vcc_lo, exec_lo, s22
	v_mul_f32_e32 v7, s16, v6
	v_ashrrev_i32_e32 v6, 31, v5
	s_cbranch_vccz .LBB65_24
; %bb.23:                               ;   in Loop: Header=BB65_10 Depth=1
	v_lshlrev_b64 v[8:9], 2, v[5:6]
	v_add_co_u32 v8, vcc_lo, s8, v8
	v_add_co_ci_u32_e64 v9, null, s9, v9, vcc_lo
	global_store_dword v[8:9], v7, off
	s_cbranch_execnz .LBB65_9
	s_branch .LBB65_25
.LBB65_24:                              ;   in Loop: Header=BB65_10 Depth=1
.LBB65_25:                              ;   in Loop: Header=BB65_10 Depth=1
	v_lshlrev_b64 v[5:6], 2, v[5:6]
	v_add_co_u32 v5, vcc_lo, s8, v5
	v_add_co_ci_u32_e64 v6, null, s9, v6, vcc_lo
	global_load_dword v8, v[5:6], off
	s_waitcnt vmcnt(0)
	v_fmac_f32_e32 v7, s18, v8
	global_store_dword v[5:6], v7, off
	s_branch .LBB65_9
.LBB65_26:
	s_endpgm
	.section	.rodata,"a",@progbits
	.p2align	6, 0x0
	.amdhsa_kernel _ZN9rocsparseL22bsrxmvn_general_kernelILj1024ELj32Efii18rocsparse_bfloat16S1_fEEv20rocsparse_direction_NS_24const_host_device_scalarIT1_EET3_PKS6_PKT2_SB_S8_PKT4_S6_PKT5_S5_PT6_21rocsparse_index_base_b
		.amdhsa_group_segment_fixed_size 0
		.amdhsa_private_segment_fixed_size 0
		.amdhsa_kernarg_size 104
		.amdhsa_user_sgpr_count 6
		.amdhsa_user_sgpr_private_segment_buffer 1
		.amdhsa_user_sgpr_dispatch_ptr 0
		.amdhsa_user_sgpr_queue_ptr 0
		.amdhsa_user_sgpr_kernarg_segment_ptr 1
		.amdhsa_user_sgpr_dispatch_id 0
		.amdhsa_user_sgpr_flat_scratch_init 0
		.amdhsa_user_sgpr_private_segment_size 0
		.amdhsa_wavefront_size32 1
		.amdhsa_uses_dynamic_stack 0
		.amdhsa_system_sgpr_private_segment_wavefront_offset 0
		.amdhsa_system_sgpr_workgroup_id_x 1
		.amdhsa_system_sgpr_workgroup_id_y 0
		.amdhsa_system_sgpr_workgroup_id_z 0
		.amdhsa_system_sgpr_workgroup_info 0
		.amdhsa_system_vgpr_workitem_id 0
		.amdhsa_next_free_vgpr 23
		.amdhsa_next_free_sgpr 32
		.amdhsa_reserve_vcc 1
		.amdhsa_reserve_flat_scratch 0
		.amdhsa_float_round_mode_32 0
		.amdhsa_float_round_mode_16_64 0
		.amdhsa_float_denorm_mode_32 3
		.amdhsa_float_denorm_mode_16_64 3
		.amdhsa_dx10_clamp 1
		.amdhsa_ieee_mode 1
		.amdhsa_fp16_overflow 0
		.amdhsa_workgroup_processor_mode 1
		.amdhsa_memory_ordered 1
		.amdhsa_forward_progress 1
		.amdhsa_shared_vgpr_count 0
		.amdhsa_exception_fp_ieee_invalid_op 0
		.amdhsa_exception_fp_denorm_src 0
		.amdhsa_exception_fp_ieee_div_zero 0
		.amdhsa_exception_fp_ieee_overflow 0
		.amdhsa_exception_fp_ieee_underflow 0
		.amdhsa_exception_fp_ieee_inexact 0
		.amdhsa_exception_int_div_zero 0
	.end_amdhsa_kernel
	.section	.text._ZN9rocsparseL22bsrxmvn_general_kernelILj1024ELj32Efii18rocsparse_bfloat16S1_fEEv20rocsparse_direction_NS_24const_host_device_scalarIT1_EET3_PKS6_PKT2_SB_S8_PKT4_S6_PKT5_S5_PT6_21rocsparse_index_base_b,"axG",@progbits,_ZN9rocsparseL22bsrxmvn_general_kernelILj1024ELj32Efii18rocsparse_bfloat16S1_fEEv20rocsparse_direction_NS_24const_host_device_scalarIT1_EET3_PKS6_PKT2_SB_S8_PKT4_S6_PKT5_S5_PT6_21rocsparse_index_base_b,comdat
.Lfunc_end65:
	.size	_ZN9rocsparseL22bsrxmvn_general_kernelILj1024ELj32Efii18rocsparse_bfloat16S1_fEEv20rocsparse_direction_NS_24const_host_device_scalarIT1_EET3_PKS6_PKT2_SB_S8_PKT4_S6_PKT5_S5_PT6_21rocsparse_index_base_b, .Lfunc_end65-_ZN9rocsparseL22bsrxmvn_general_kernelILj1024ELj32Efii18rocsparse_bfloat16S1_fEEv20rocsparse_direction_NS_24const_host_device_scalarIT1_EET3_PKS6_PKT2_SB_S8_PKT4_S6_PKT5_S5_PT6_21rocsparse_index_base_b
                                        ; -- End function
	.set _ZN9rocsparseL22bsrxmvn_general_kernelILj1024ELj32Efii18rocsparse_bfloat16S1_fEEv20rocsparse_direction_NS_24const_host_device_scalarIT1_EET3_PKS6_PKT2_SB_S8_PKT4_S6_PKT5_S5_PT6_21rocsparse_index_base_b.num_vgpr, 23
	.set _ZN9rocsparseL22bsrxmvn_general_kernelILj1024ELj32Efii18rocsparse_bfloat16S1_fEEv20rocsparse_direction_NS_24const_host_device_scalarIT1_EET3_PKS6_PKT2_SB_S8_PKT4_S6_PKT5_S5_PT6_21rocsparse_index_base_b.num_agpr, 0
	.set _ZN9rocsparseL22bsrxmvn_general_kernelILj1024ELj32Efii18rocsparse_bfloat16S1_fEEv20rocsparse_direction_NS_24const_host_device_scalarIT1_EET3_PKS6_PKT2_SB_S8_PKT4_S6_PKT5_S5_PT6_21rocsparse_index_base_b.numbered_sgpr, 32
	.set _ZN9rocsparseL22bsrxmvn_general_kernelILj1024ELj32Efii18rocsparse_bfloat16S1_fEEv20rocsparse_direction_NS_24const_host_device_scalarIT1_EET3_PKS6_PKT2_SB_S8_PKT4_S6_PKT5_S5_PT6_21rocsparse_index_base_b.num_named_barrier, 0
	.set _ZN9rocsparseL22bsrxmvn_general_kernelILj1024ELj32Efii18rocsparse_bfloat16S1_fEEv20rocsparse_direction_NS_24const_host_device_scalarIT1_EET3_PKS6_PKT2_SB_S8_PKT4_S6_PKT5_S5_PT6_21rocsparse_index_base_b.private_seg_size, 0
	.set _ZN9rocsparseL22bsrxmvn_general_kernelILj1024ELj32Efii18rocsparse_bfloat16S1_fEEv20rocsparse_direction_NS_24const_host_device_scalarIT1_EET3_PKS6_PKT2_SB_S8_PKT4_S6_PKT5_S5_PT6_21rocsparse_index_base_b.uses_vcc, 1
	.set _ZN9rocsparseL22bsrxmvn_general_kernelILj1024ELj32Efii18rocsparse_bfloat16S1_fEEv20rocsparse_direction_NS_24const_host_device_scalarIT1_EET3_PKS6_PKT2_SB_S8_PKT4_S6_PKT5_S5_PT6_21rocsparse_index_base_b.uses_flat_scratch, 0
	.set _ZN9rocsparseL22bsrxmvn_general_kernelILj1024ELj32Efii18rocsparse_bfloat16S1_fEEv20rocsparse_direction_NS_24const_host_device_scalarIT1_EET3_PKS6_PKT2_SB_S8_PKT4_S6_PKT5_S5_PT6_21rocsparse_index_base_b.has_dyn_sized_stack, 0
	.set _ZN9rocsparseL22bsrxmvn_general_kernelILj1024ELj32Efii18rocsparse_bfloat16S1_fEEv20rocsparse_direction_NS_24const_host_device_scalarIT1_EET3_PKS6_PKT2_SB_S8_PKT4_S6_PKT5_S5_PT6_21rocsparse_index_base_b.has_recursion, 0
	.set _ZN9rocsparseL22bsrxmvn_general_kernelILj1024ELj32Efii18rocsparse_bfloat16S1_fEEv20rocsparse_direction_NS_24const_host_device_scalarIT1_EET3_PKS6_PKT2_SB_S8_PKT4_S6_PKT5_S5_PT6_21rocsparse_index_base_b.has_indirect_call, 0
	.section	.AMDGPU.csdata,"",@progbits
; Kernel info:
; codeLenInByte = 1104
; TotalNumSgprs: 34
; NumVgprs: 23
; ScratchSize: 0
; MemoryBound: 0
; FloatMode: 240
; IeeeMode: 1
; LDSByteSize: 0 bytes/workgroup (compile time only)
; SGPRBlocks: 0
; VGPRBlocks: 2
; NumSGPRsForWavesPerEU: 34
; NumVGPRsForWavesPerEU: 23
; Occupancy: 16
; WaveLimiterHint : 1
; COMPUTE_PGM_RSRC2:SCRATCH_EN: 0
; COMPUTE_PGM_RSRC2:USER_SGPR: 6
; COMPUTE_PGM_RSRC2:TRAP_HANDLER: 0
; COMPUTE_PGM_RSRC2:TGID_X_EN: 1
; COMPUTE_PGM_RSRC2:TGID_Y_EN: 0
; COMPUTE_PGM_RSRC2:TGID_Z_EN: 0
; COMPUTE_PGM_RSRC2:TIDIG_COMP_CNT: 0
	.section	.text._ZN9rocsparseL22bsrxmvn_general_kernelILj64ELj8Efli18rocsparse_bfloat16S1_fEEv20rocsparse_direction_NS_24const_host_device_scalarIT1_EET3_PKS6_PKT2_SB_S8_PKT4_S6_PKT5_S5_PT6_21rocsparse_index_base_b,"axG",@progbits,_ZN9rocsparseL22bsrxmvn_general_kernelILj64ELj8Efli18rocsparse_bfloat16S1_fEEv20rocsparse_direction_NS_24const_host_device_scalarIT1_EET3_PKS6_PKT2_SB_S8_PKT4_S6_PKT5_S5_PT6_21rocsparse_index_base_b,comdat
	.globl	_ZN9rocsparseL22bsrxmvn_general_kernelILj64ELj8Efli18rocsparse_bfloat16S1_fEEv20rocsparse_direction_NS_24const_host_device_scalarIT1_EET3_PKS6_PKT2_SB_S8_PKT4_S6_PKT5_S5_PT6_21rocsparse_index_base_b ; -- Begin function _ZN9rocsparseL22bsrxmvn_general_kernelILj64ELj8Efli18rocsparse_bfloat16S1_fEEv20rocsparse_direction_NS_24const_host_device_scalarIT1_EET3_PKS6_PKT2_SB_S8_PKT4_S6_PKT5_S5_PT6_21rocsparse_index_base_b
	.p2align	8
	.type	_ZN9rocsparseL22bsrxmvn_general_kernelILj64ELj8Efli18rocsparse_bfloat16S1_fEEv20rocsparse_direction_NS_24const_host_device_scalarIT1_EET3_PKS6_PKT2_SB_S8_PKT4_S6_PKT5_S5_PT6_21rocsparse_index_base_b,@function
_ZN9rocsparseL22bsrxmvn_general_kernelILj64ELj8Efli18rocsparse_bfloat16S1_fEEv20rocsparse_direction_NS_24const_host_device_scalarIT1_EET3_PKS6_PKT2_SB_S8_PKT4_S6_PKT5_S5_PT6_21rocsparse_index_base_b: ; @_ZN9rocsparseL22bsrxmvn_general_kernelILj64ELj8Efli18rocsparse_bfloat16S1_fEEv20rocsparse_direction_NS_24const_host_device_scalarIT1_EET3_PKS6_PKT2_SB_S8_PKT4_S6_PKT5_S5_PT6_21rocsparse_index_base_b
; %bb.0:
	s_clause 0x2
	s_load_dwordx2 s[2:3], s[4:5], 0x60
	s_load_dwordx2 s[16:17], s[4:5], 0x8
	;; [unrolled: 1-line block ×3, first 2 shown]
	s_waitcnt lgkmcnt(0)
	s_bitcmp1_b32 s3, 0
	s_cselect_b32 s0, -1, 0
	s_and_b32 vcc_lo, exec_lo, s0
	s_xor_b32 s0, s0, -1
	s_cbranch_vccnz .LBB66_2
; %bb.1:
	s_load_dword s16, s[16:17], 0x0
.LBB66_2:
	s_andn2_b32 vcc_lo, exec_lo, s0
	s_cbranch_vccnz .LBB66_4
; %bb.3:
	s_load_dword s18, s[18:19], 0x0
.LBB66_4:
	s_waitcnt lgkmcnt(0)
	v_cmp_neq_f32_e64 s0, s16, 0
	v_cmp_neq_f32_e64 s1, s18, 1.0
	s_or_b32 s0, s0, s1
	s_andn2_b32 vcc_lo, exec_lo, s0
	s_cbranch_vccnz .LBB66_26
; %bb.5:
	s_load_dwordx2 s[0:1], s[4:5], 0x18
	s_waitcnt lgkmcnt(0)
	s_cmp_eq_u64 s[0:1], 0
	s_cbranch_scc1 .LBB66_7
; %bb.6:
	s_ashr_i32 s7, s6, 31
	s_lshl_b64 s[6:7], s[6:7], 2
	s_add_u32 s0, s0, s6
	s_addc_u32 s1, s1, s7
	s_load_dword s0, s[0:1], 0x0
	s_waitcnt lgkmcnt(0)
	s_sub_i32 s6, s0, s2
.LBB66_7:
	s_load_dword s3, s[4:5], 0x40
	v_lshrrev_b32_e32 v1, 3, v0
	s_mov_b32 s0, exec_lo
	s_waitcnt lgkmcnt(0)
	v_cmpx_gt_i32_e64 s3, v1
	s_cbranch_execz .LBB66_26
; %bb.8:
	s_load_dwordx8 s[8:15], s[4:5], 0x20
	s_ashr_i32 s7, s6, 31
	s_load_dword s28, s[4:5], 0x0
	s_lshl_b64 s[0:1], s[6:7], 3
	v_mbcnt_lo_u32_b32 v2, -1, 0
	v_and_b32_e32 v3, 7, v0
	s_mul_hi_u32 s19, s3, s3
	s_mul_i32 s22, s3, s3
	v_mul_lo_u32 v0, s3, v1
	v_xor_b32_e32 v5, 4, v2
	v_xor_b32_e32 v6, 2, v2
	;; [unrolled: 1-line block ×3, first 2 shown]
	v_mul_lo_u32 v11, s3, v3
	v_cmp_eq_f32_e64 s23, s18, 0
	v_cmp_gt_i32_e32 vcc_lo, 32, v5
	v_mov_b32_e32 v4, 0
	s_mov_b32 s17, 0
	v_cndmask_b32_e32 v5, v2, v5, vcc_lo
	s_waitcnt lgkmcnt(0)
	s_add_u32 s24, s8, s0
	s_addc_u32 s25, s9, s1
	v_cmp_gt_i32_e32 vcc_lo, 32, v6
	s_load_dwordx2 s[26:27], s[24:25], 0x0
	s_clause 0x1
	s_load_dwordx2 s[8:9], s[4:5], 0x58
	s_load_dwordx2 s[20:21], s[4:5], 0x48
	v_lshlrev_b32_e32 v12, 2, v5
	v_cndmask_b32_e32 v6, v2, v6, vcc_lo
	v_cmp_gt_i32_e32 vcc_lo, 32, v7
	v_lshlrev_b32_e32 v13, 2, v6
	v_cndmask_b32_e32 v2, v2, v7, vcc_lo
	v_lshlrev_b32_e32 v14, 2, v2
	s_waitcnt lgkmcnt(0)
	s_sub_u32 s4, s26, s2
	s_subb_u32 s5, s27, 0
	s_add_u32 s7, s24, 8
	s_addc_u32 s25, s25, 0
	s_add_u32 s0, s10, s0
	s_addc_u32 s1, s11, s1
	s_cmp_eq_u64 s[10:11], 0
	s_mul_i32 s24, s6, s3
	s_cselect_b32 s1, s25, s1
	s_cselect_b32 s0, s7, s0
	s_mul_i32 s29, s4, s19
	s_load_dwordx2 s[10:11], s[0:1], 0x0
	s_mul_hi_u32 s30, s4, s22
	v_cmp_gt_u32_e64 s0, s3, v3
	v_cmp_eq_u32_e64 s1, 7, v3
	s_mul_i32 s31, s5, s22
	s_waitcnt lgkmcnt(0)
	s_sub_u32 s6, s10, s2
	s_subb_u32 s7, s11, 0
	s_cmp_lg_u32 s28, 0
	v_cmp_lt_i64_e64 s25, s[26:27], s[10:11]
	s_cselect_b32 s26, -1, 0
	s_add_i32 s10, s30, s29
	s_mul_i32 s27, s4, s22
	s_add_i32 s28, s10, s31
	s_lshl_b32 s29, s3, 3
	s_branch .LBB66_10
.LBB66_9:                               ;   in Loop: Header=BB66_10 Depth=1
	s_or_b32 exec_lo, exec_lo, s10
	v_add_nc_u32_e32 v1, 8, v1
	v_add_nc_u32_e32 v0, s29, v0
	v_cmp_le_i32_e32 vcc_lo, s3, v1
	s_or_b32 s17, vcc_lo, s17
	s_andn2_b32 exec_lo, exec_lo, s17
	s_cbranch_execz .LBB66_26
.LBB66_10:                              ; =>This Loop Header: Depth=1
                                        ;     Child Loop BB66_14 Depth 2
                                        ;       Child Loop BB66_17 Depth 3
	v_mov_b32_e32 v15, 0
	s_andn2_b32 vcc_lo, exec_lo, s25
	s_cbranch_vccnz .LBB66_21
; %bb.11:                               ;   in Loop: Header=BB66_10 Depth=1
	s_waitcnt lgkmcnt(0)
	v_ashrrev_i32_e32 v5, 31, v0
	v_add_co_u32 v16, vcc_lo, s27, v0
	v_ashrrev_i32_e32 v2, 31, v1
	v_mov_b32_e32 v15, 0
	v_add_co_ci_u32_e64 v17, null, s28, v5, vcc_lo
	s_mov_b64 s[10:11], s[4:5]
	s_branch .LBB66_14
.LBB66_12:                              ;   in Loop: Header=BB66_14 Depth=2
	s_or_b32 exec_lo, exec_lo, s31
.LBB66_13:                              ;   in Loop: Header=BB66_14 Depth=2
	s_or_b32 exec_lo, exec_lo, s30
	s_add_u32 s10, s10, 1
	s_addc_u32 s11, s11, 0
	v_add_co_u32 v16, vcc_lo, v16, s22
	v_cmp_ge_i64_e64 s30, s[10:11], s[6:7]
	v_add_co_ci_u32_e64 v17, null, s19, v17, vcc_lo
	s_and_b32 vcc_lo, exec_lo, s30
	s_cbranch_vccnz .LBB66_21
.LBB66_14:                              ;   Parent Loop BB66_10 Depth=1
                                        ; =>  This Loop Header: Depth=2
                                        ;       Child Loop BB66_17 Depth 3
	s_and_saveexec_b32 s30, s0
	s_cbranch_execz .LBB66_13
; %bb.15:                               ;   in Loop: Header=BB66_14 Depth=2
	s_lshl_b64 s[34:35], s[10:11], 2
	v_mad_u64_u32 v[5:6], null, s22, s10, v[1:2]
	s_add_u32 s34, s12, s34
	s_addc_u32 s35, s13, s35
	s_mul_i32 s33, s19, s10
	s_load_dword s31, s[34:35], 0x0
	s_mul_i32 s34, s22, s11
	v_mov_b32_e32 v8, v4
	v_mov_b32_e32 v18, v11
	;; [unrolled: 1-line block ×3, first 2 shown]
	v_add3_u32 v6, s34, s33, v6
	s_waitcnt lgkmcnt(0)
	s_sub_i32 s31, s31, s2
	s_mul_i32 s33, s31, s3
	s_mov_b32 s31, 0
	s_branch .LBB66_17
.LBB66_16:                              ;   in Loop: Header=BB66_17 Depth=3
	v_add_nc_u32_e32 v19, s33, v7
	v_lshlrev_b64 v[9:10], 1, v[9:10]
	v_add_nc_u32_e32 v18, s29, v18
	v_ashrrev_i32_e32 v20, 31, v19
	v_add_co_u32 v9, vcc_lo, s14, v9
	v_add_co_ci_u32_e64 v10, null, s15, v10, vcc_lo
	v_lshlrev_b64 v[19:20], 1, v[19:20]
	v_add_co_u32 v19, vcc_lo, s20, v19
	v_add_co_ci_u32_e64 v20, null, s21, v20, vcc_lo
	v_add_co_u32 v7, vcc_lo, v7, 8
	global_load_ushort v9, v[9:10], off
	global_load_ushort v10, v[19:20], off
	v_add_co_ci_u32_e64 v8, null, 0, v8, vcc_lo
	v_cmp_le_i32_e32 vcc_lo, s3, v7
	s_or_b32 s31, vcc_lo, s31
	s_waitcnt vmcnt(1)
	v_lshlrev_b32_e32 v9, 16, v9
	s_waitcnt vmcnt(0)
	v_lshlrev_b32_e32 v10, 16, v10
	v_fmac_f32_e32 v15, v9, v10
	s_andn2_b32 exec_lo, exec_lo, s31
	s_cbranch_execz .LBB66_12
.LBB66_17:                              ;   Parent Loop BB66_10 Depth=1
                                        ;     Parent Loop BB66_14 Depth=2
                                        ; =>    This Inner Loop Header: Depth=3
	s_and_b32 vcc_lo, exec_lo, s26
	s_cbranch_vccz .LBB66_19
; %bb.18:                               ;   in Loop: Header=BB66_17 Depth=3
	v_ashrrev_i32_e32 v10, 31, v18
	v_add_co_u32 v9, vcc_lo, v5, v18
	v_add_co_ci_u32_e64 v10, null, v6, v10, vcc_lo
	s_cbranch_execnz .LBB66_16
	s_branch .LBB66_20
.LBB66_19:                              ;   in Loop: Header=BB66_17 Depth=3
                                        ; implicit-def: $vgpr9_vgpr10
.LBB66_20:                              ;   in Loop: Header=BB66_17 Depth=3
	v_add_co_u32 v9, vcc_lo, v16, v7
	v_add_co_ci_u32_e64 v10, null, v17, v8, vcc_lo
	s_branch .LBB66_16
.LBB66_21:                              ;   in Loop: Header=BB66_10 Depth=1
	ds_bpermute_b32 v2, v12, v15
	s_waitcnt lgkmcnt(0)
	v_add_f32_e32 v2, v15, v2
	ds_bpermute_b32 v5, v13, v2
	s_waitcnt lgkmcnt(0)
	v_add_f32_e32 v2, v2, v5
	ds_bpermute_b32 v5, v14, v2
	s_and_saveexec_b32 s10, s1
	s_cbranch_execz .LBB66_9
; %bb.22:                               ;   in Loop: Header=BB66_10 Depth=1
	s_waitcnt lgkmcnt(0)
	v_add_f32_e32 v2, v2, v5
	v_add_nc_u32_e32 v5, s24, v1
	s_and_b32 vcc_lo, exec_lo, s23
	v_mul_f32_e32 v2, s16, v2
	v_ashrrev_i32_e32 v6, 31, v5
	s_cbranch_vccz .LBB66_24
; %bb.23:                               ;   in Loop: Header=BB66_10 Depth=1
	v_lshlrev_b64 v[7:8], 2, v[5:6]
	v_add_co_u32 v7, vcc_lo, s8, v7
	v_add_co_ci_u32_e64 v8, null, s9, v8, vcc_lo
	global_store_dword v[7:8], v2, off
	s_cbranch_execnz .LBB66_9
	s_branch .LBB66_25
.LBB66_24:                              ;   in Loop: Header=BB66_10 Depth=1
.LBB66_25:                              ;   in Loop: Header=BB66_10 Depth=1
	v_lshlrev_b64 v[5:6], 2, v[5:6]
	v_add_co_u32 v5, vcc_lo, s8, v5
	v_add_co_ci_u32_e64 v6, null, s9, v6, vcc_lo
	global_load_dword v7, v[5:6], off
	s_waitcnt vmcnt(0)
	v_fmac_f32_e32 v2, s18, v7
	global_store_dword v[5:6], v2, off
	s_branch .LBB66_9
.LBB66_26:
	s_endpgm
	.section	.rodata,"a",@progbits
	.p2align	6, 0x0
	.amdhsa_kernel _ZN9rocsparseL22bsrxmvn_general_kernelILj64ELj8Efli18rocsparse_bfloat16S1_fEEv20rocsparse_direction_NS_24const_host_device_scalarIT1_EET3_PKS6_PKT2_SB_S8_PKT4_S6_PKT5_S5_PT6_21rocsparse_index_base_b
		.amdhsa_group_segment_fixed_size 0
		.amdhsa_private_segment_fixed_size 0
		.amdhsa_kernarg_size 104
		.amdhsa_user_sgpr_count 6
		.amdhsa_user_sgpr_private_segment_buffer 1
		.amdhsa_user_sgpr_dispatch_ptr 0
		.amdhsa_user_sgpr_queue_ptr 0
		.amdhsa_user_sgpr_kernarg_segment_ptr 1
		.amdhsa_user_sgpr_dispatch_id 0
		.amdhsa_user_sgpr_flat_scratch_init 0
		.amdhsa_user_sgpr_private_segment_size 0
		.amdhsa_wavefront_size32 1
		.amdhsa_uses_dynamic_stack 0
		.amdhsa_system_sgpr_private_segment_wavefront_offset 0
		.amdhsa_system_sgpr_workgroup_id_x 1
		.amdhsa_system_sgpr_workgroup_id_y 0
		.amdhsa_system_sgpr_workgroup_id_z 0
		.amdhsa_system_sgpr_workgroup_info 0
		.amdhsa_system_vgpr_workitem_id 0
		.amdhsa_next_free_vgpr 21
		.amdhsa_next_free_sgpr 36
		.amdhsa_reserve_vcc 1
		.amdhsa_reserve_flat_scratch 0
		.amdhsa_float_round_mode_32 0
		.amdhsa_float_round_mode_16_64 0
		.amdhsa_float_denorm_mode_32 3
		.amdhsa_float_denorm_mode_16_64 3
		.amdhsa_dx10_clamp 1
		.amdhsa_ieee_mode 1
		.amdhsa_fp16_overflow 0
		.amdhsa_workgroup_processor_mode 1
		.amdhsa_memory_ordered 1
		.amdhsa_forward_progress 1
		.amdhsa_shared_vgpr_count 0
		.amdhsa_exception_fp_ieee_invalid_op 0
		.amdhsa_exception_fp_denorm_src 0
		.amdhsa_exception_fp_ieee_div_zero 0
		.amdhsa_exception_fp_ieee_overflow 0
		.amdhsa_exception_fp_ieee_underflow 0
		.amdhsa_exception_fp_ieee_inexact 0
		.amdhsa_exception_int_div_zero 0
	.end_amdhsa_kernel
	.section	.text._ZN9rocsparseL22bsrxmvn_general_kernelILj64ELj8Efli18rocsparse_bfloat16S1_fEEv20rocsparse_direction_NS_24const_host_device_scalarIT1_EET3_PKS6_PKT2_SB_S8_PKT4_S6_PKT5_S5_PT6_21rocsparse_index_base_b,"axG",@progbits,_ZN9rocsparseL22bsrxmvn_general_kernelILj64ELj8Efli18rocsparse_bfloat16S1_fEEv20rocsparse_direction_NS_24const_host_device_scalarIT1_EET3_PKS6_PKT2_SB_S8_PKT4_S6_PKT5_S5_PT6_21rocsparse_index_base_b,comdat
.Lfunc_end66:
	.size	_ZN9rocsparseL22bsrxmvn_general_kernelILj64ELj8Efli18rocsparse_bfloat16S1_fEEv20rocsparse_direction_NS_24const_host_device_scalarIT1_EET3_PKS6_PKT2_SB_S8_PKT4_S6_PKT5_S5_PT6_21rocsparse_index_base_b, .Lfunc_end66-_ZN9rocsparseL22bsrxmvn_general_kernelILj64ELj8Efli18rocsparse_bfloat16S1_fEEv20rocsparse_direction_NS_24const_host_device_scalarIT1_EET3_PKS6_PKT2_SB_S8_PKT4_S6_PKT5_S5_PT6_21rocsparse_index_base_b
                                        ; -- End function
	.set _ZN9rocsparseL22bsrxmvn_general_kernelILj64ELj8Efli18rocsparse_bfloat16S1_fEEv20rocsparse_direction_NS_24const_host_device_scalarIT1_EET3_PKS6_PKT2_SB_S8_PKT4_S6_PKT5_S5_PT6_21rocsparse_index_base_b.num_vgpr, 21
	.set _ZN9rocsparseL22bsrxmvn_general_kernelILj64ELj8Efli18rocsparse_bfloat16S1_fEEv20rocsparse_direction_NS_24const_host_device_scalarIT1_EET3_PKS6_PKT2_SB_S8_PKT4_S6_PKT5_S5_PT6_21rocsparse_index_base_b.num_agpr, 0
	.set _ZN9rocsparseL22bsrxmvn_general_kernelILj64ELj8Efli18rocsparse_bfloat16S1_fEEv20rocsparse_direction_NS_24const_host_device_scalarIT1_EET3_PKS6_PKT2_SB_S8_PKT4_S6_PKT5_S5_PT6_21rocsparse_index_base_b.numbered_sgpr, 36
	.set _ZN9rocsparseL22bsrxmvn_general_kernelILj64ELj8Efli18rocsparse_bfloat16S1_fEEv20rocsparse_direction_NS_24const_host_device_scalarIT1_EET3_PKS6_PKT2_SB_S8_PKT4_S6_PKT5_S5_PT6_21rocsparse_index_base_b.num_named_barrier, 0
	.set _ZN9rocsparseL22bsrxmvn_general_kernelILj64ELj8Efli18rocsparse_bfloat16S1_fEEv20rocsparse_direction_NS_24const_host_device_scalarIT1_EET3_PKS6_PKT2_SB_S8_PKT4_S6_PKT5_S5_PT6_21rocsparse_index_base_b.private_seg_size, 0
	.set _ZN9rocsparseL22bsrxmvn_general_kernelILj64ELj8Efli18rocsparse_bfloat16S1_fEEv20rocsparse_direction_NS_24const_host_device_scalarIT1_EET3_PKS6_PKT2_SB_S8_PKT4_S6_PKT5_S5_PT6_21rocsparse_index_base_b.uses_vcc, 1
	.set _ZN9rocsparseL22bsrxmvn_general_kernelILj64ELj8Efli18rocsparse_bfloat16S1_fEEv20rocsparse_direction_NS_24const_host_device_scalarIT1_EET3_PKS6_PKT2_SB_S8_PKT4_S6_PKT5_S5_PT6_21rocsparse_index_base_b.uses_flat_scratch, 0
	.set _ZN9rocsparseL22bsrxmvn_general_kernelILj64ELj8Efli18rocsparse_bfloat16S1_fEEv20rocsparse_direction_NS_24const_host_device_scalarIT1_EET3_PKS6_PKT2_SB_S8_PKT4_S6_PKT5_S5_PT6_21rocsparse_index_base_b.has_dyn_sized_stack, 0
	.set _ZN9rocsparseL22bsrxmvn_general_kernelILj64ELj8Efli18rocsparse_bfloat16S1_fEEv20rocsparse_direction_NS_24const_host_device_scalarIT1_EET3_PKS6_PKT2_SB_S8_PKT4_S6_PKT5_S5_PT6_21rocsparse_index_base_b.has_recursion, 0
	.set _ZN9rocsparseL22bsrxmvn_general_kernelILj64ELj8Efli18rocsparse_bfloat16S1_fEEv20rocsparse_direction_NS_24const_host_device_scalarIT1_EET3_PKS6_PKT2_SB_S8_PKT4_S6_PKT5_S5_PT6_21rocsparse_index_base_b.has_indirect_call, 0
	.section	.AMDGPU.csdata,"",@progbits
; Kernel info:
; codeLenInByte = 1052
; TotalNumSgprs: 38
; NumVgprs: 21
; ScratchSize: 0
; MemoryBound: 0
; FloatMode: 240
; IeeeMode: 1
; LDSByteSize: 0 bytes/workgroup (compile time only)
; SGPRBlocks: 0
; VGPRBlocks: 2
; NumSGPRsForWavesPerEU: 38
; NumVGPRsForWavesPerEU: 21
; Occupancy: 16
; WaveLimiterHint : 1
; COMPUTE_PGM_RSRC2:SCRATCH_EN: 0
; COMPUTE_PGM_RSRC2:USER_SGPR: 6
; COMPUTE_PGM_RSRC2:TRAP_HANDLER: 0
; COMPUTE_PGM_RSRC2:TGID_X_EN: 1
; COMPUTE_PGM_RSRC2:TGID_Y_EN: 0
; COMPUTE_PGM_RSRC2:TGID_Z_EN: 0
; COMPUTE_PGM_RSRC2:TIDIG_COMP_CNT: 0
	.section	.text._ZN9rocsparseL22bsrxmvn_general_kernelILj256ELj16Efli18rocsparse_bfloat16S1_fEEv20rocsparse_direction_NS_24const_host_device_scalarIT1_EET3_PKS6_PKT2_SB_S8_PKT4_S6_PKT5_S5_PT6_21rocsparse_index_base_b,"axG",@progbits,_ZN9rocsparseL22bsrxmvn_general_kernelILj256ELj16Efli18rocsparse_bfloat16S1_fEEv20rocsparse_direction_NS_24const_host_device_scalarIT1_EET3_PKS6_PKT2_SB_S8_PKT4_S6_PKT5_S5_PT6_21rocsparse_index_base_b,comdat
	.globl	_ZN9rocsparseL22bsrxmvn_general_kernelILj256ELj16Efli18rocsparse_bfloat16S1_fEEv20rocsparse_direction_NS_24const_host_device_scalarIT1_EET3_PKS6_PKT2_SB_S8_PKT4_S6_PKT5_S5_PT6_21rocsparse_index_base_b ; -- Begin function _ZN9rocsparseL22bsrxmvn_general_kernelILj256ELj16Efli18rocsparse_bfloat16S1_fEEv20rocsparse_direction_NS_24const_host_device_scalarIT1_EET3_PKS6_PKT2_SB_S8_PKT4_S6_PKT5_S5_PT6_21rocsparse_index_base_b
	.p2align	8
	.type	_ZN9rocsparseL22bsrxmvn_general_kernelILj256ELj16Efli18rocsparse_bfloat16S1_fEEv20rocsparse_direction_NS_24const_host_device_scalarIT1_EET3_PKS6_PKT2_SB_S8_PKT4_S6_PKT5_S5_PT6_21rocsparse_index_base_b,@function
_ZN9rocsparseL22bsrxmvn_general_kernelILj256ELj16Efli18rocsparse_bfloat16S1_fEEv20rocsparse_direction_NS_24const_host_device_scalarIT1_EET3_PKS6_PKT2_SB_S8_PKT4_S6_PKT5_S5_PT6_21rocsparse_index_base_b: ; @_ZN9rocsparseL22bsrxmvn_general_kernelILj256ELj16Efli18rocsparse_bfloat16S1_fEEv20rocsparse_direction_NS_24const_host_device_scalarIT1_EET3_PKS6_PKT2_SB_S8_PKT4_S6_PKT5_S5_PT6_21rocsparse_index_base_b
; %bb.0:
	s_clause 0x2
	s_load_dwordx2 s[2:3], s[4:5], 0x60
	s_load_dwordx2 s[16:17], s[4:5], 0x8
	s_load_dwordx2 s[18:19], s[4:5], 0x50
	s_waitcnt lgkmcnt(0)
	s_bitcmp1_b32 s3, 0
	s_cselect_b32 s0, -1, 0
	s_and_b32 vcc_lo, exec_lo, s0
	s_xor_b32 s0, s0, -1
	s_cbranch_vccnz .LBB67_2
; %bb.1:
	s_load_dword s16, s[16:17], 0x0
.LBB67_2:
	s_andn2_b32 vcc_lo, exec_lo, s0
	s_cbranch_vccnz .LBB67_4
; %bb.3:
	s_load_dword s18, s[18:19], 0x0
.LBB67_4:
	s_waitcnt lgkmcnt(0)
	v_cmp_neq_f32_e64 s0, s16, 0
	v_cmp_neq_f32_e64 s1, s18, 1.0
	s_or_b32 s0, s0, s1
	s_andn2_b32 vcc_lo, exec_lo, s0
	s_cbranch_vccnz .LBB67_26
; %bb.5:
	s_load_dwordx2 s[0:1], s[4:5], 0x18
	s_waitcnt lgkmcnt(0)
	s_cmp_eq_u64 s[0:1], 0
	s_cbranch_scc1 .LBB67_7
; %bb.6:
	s_ashr_i32 s7, s6, 31
	s_lshl_b64 s[6:7], s[6:7], 2
	s_add_u32 s0, s0, s6
	s_addc_u32 s1, s1, s7
	s_load_dword s0, s[0:1], 0x0
	s_waitcnt lgkmcnt(0)
	s_sub_i32 s6, s0, s2
.LBB67_7:
	s_load_dword s3, s[4:5], 0x40
	v_lshrrev_b32_e32 v1, 4, v0
	s_mov_b32 s0, exec_lo
	s_waitcnt lgkmcnt(0)
	v_cmpx_gt_i32_e64 s3, v1
	s_cbranch_execz .LBB67_26
; %bb.8:
	s_load_dwordx8 s[8:15], s[4:5], 0x20
	s_ashr_i32 s7, s6, 31
	v_mbcnt_lo_u32_b32 v2, -1, 0
	s_lshl_b64 s[28:29], s[6:7], 3
	s_load_dword s27, s[4:5], 0x0
	s_mul_i32 s26, s6, s3
	v_and_b32_e32 v3, 15, v0
	v_xor_b32_e32 v5, 8, v2
	v_xor_b32_e32 v6, 4, v2
	;; [unrolled: 1-line block ×4, first 2 shown]
	s_mul_hi_u32 s19, s3, s3
	v_cmp_gt_i32_e32 vcc_lo, 32, v5
	s_mul_i32 s24, s3, s3
	v_mul_lo_u32 v0, s3, v1
	v_mul_lo_u32 v11, s3, v3
	v_cmp_eq_f32_e64 s25, s18, 0
	v_cndmask_b32_e32 v5, v2, v5, vcc_lo
	v_cmp_gt_i32_e32 vcc_lo, 32, v6
	v_mov_b32_e32 v4, 0
	s_waitcnt lgkmcnt(0)
	s_add_u32 s30, s8, s28
	s_addc_u32 s31, s9, s29
	v_cmp_gt_u32_e64 s0, s3, v3
	s_load_dwordx2 s[22:23], s[30:31], 0x0
	s_clause 0x1
	s_load_dwordx2 s[8:9], s[4:5], 0x58
	s_load_dwordx2 s[20:21], s[4:5], 0x48
	v_cndmask_b32_e32 v6, v2, v6, vcc_lo
	v_cmp_gt_i32_e32 vcc_lo, 32, v7
	v_lshlrev_b32_e32 v12, 2, v5
	s_mov_b32 s17, 0
	v_lshlrev_b32_e32 v13, 2, v6
	v_cndmask_b32_e32 v7, v2, v7, vcc_lo
	v_cmp_gt_i32_e32 vcc_lo, 32, v8
	v_lshlrev_b32_e32 v14, 2, v7
	v_cndmask_b32_e32 v2, v2, v8, vcc_lo
	v_lshlrev_b32_e32 v15, 2, v2
	s_waitcnt lgkmcnt(0)
	s_sub_u32 s4, s22, s2
	s_subb_u32 s5, s23, 0
	s_add_u32 s1, s30, 8
	s_addc_u32 s6, s31, 0
	s_add_u32 s28, s10, s28
	s_addc_u32 s7, s11, s29
	s_cmp_eq_u64 s[10:11], 0
	s_mul_hi_u32 s29, s4, s24
	s_cselect_b32 s7, s6, s7
	s_cselect_b32 s6, s1, s28
	s_mul_i32 s28, s4, s19
	s_load_dwordx2 s[10:11], s[6:7], 0x0
	v_cmp_eq_u32_e64 s1, 15, v3
	s_mul_i32 s30, s5, s24
	s_waitcnt lgkmcnt(0)
	s_sub_u32 s6, s10, s2
	s_subb_u32 s7, s11, 0
	s_cmp_lg_u32 s27, 0
	v_cmp_lt_i64_e64 s22, s[22:23], s[10:11]
	s_cselect_b32 s23, -1, 0
	s_add_i32 s10, s29, s28
	s_mul_i32 s27, s4, s24
	s_add_i32 s28, s10, s30
	s_lshl_b32 s29, s3, 4
	s_branch .LBB67_10
.LBB67_9:                               ;   in Loop: Header=BB67_10 Depth=1
	s_or_b32 exec_lo, exec_lo, s10
	v_add_nc_u32_e32 v1, 16, v1
	v_add_nc_u32_e32 v0, s29, v0
	v_cmp_le_i32_e32 vcc_lo, s3, v1
	s_or_b32 s17, vcc_lo, s17
	s_andn2_b32 exec_lo, exec_lo, s17
	s_cbranch_execz .LBB67_26
.LBB67_10:                              ; =>This Loop Header: Depth=1
                                        ;     Child Loop BB67_14 Depth 2
                                        ;       Child Loop BB67_17 Depth 3
	v_mov_b32_e32 v16, 0
	s_andn2_b32 vcc_lo, exec_lo, s22
	s_cbranch_vccnz .LBB67_21
; %bb.11:                               ;   in Loop: Header=BB67_10 Depth=1
	s_waitcnt lgkmcnt(0)
	v_ashrrev_i32_e32 v5, 31, v0
	v_add_co_u32 v17, vcc_lo, s27, v0
	v_ashrrev_i32_e32 v2, 31, v1
	v_mov_b32_e32 v16, 0
	v_add_co_ci_u32_e64 v18, null, s28, v5, vcc_lo
	s_mov_b64 s[10:11], s[4:5]
	s_branch .LBB67_14
.LBB67_12:                              ;   in Loop: Header=BB67_14 Depth=2
	s_or_b32 exec_lo, exec_lo, s31
.LBB67_13:                              ;   in Loop: Header=BB67_14 Depth=2
	s_or_b32 exec_lo, exec_lo, s30
	s_add_u32 s10, s10, 1
	s_addc_u32 s11, s11, 0
	v_add_co_u32 v17, vcc_lo, v17, s24
	v_cmp_ge_i64_e64 s30, s[10:11], s[6:7]
	v_add_co_ci_u32_e64 v18, null, s19, v18, vcc_lo
	s_and_b32 vcc_lo, exec_lo, s30
	s_cbranch_vccnz .LBB67_21
.LBB67_14:                              ;   Parent Loop BB67_10 Depth=1
                                        ; =>  This Loop Header: Depth=2
                                        ;       Child Loop BB67_17 Depth 3
	s_and_saveexec_b32 s30, s0
	s_cbranch_execz .LBB67_13
; %bb.15:                               ;   in Loop: Header=BB67_14 Depth=2
	s_lshl_b64 s[34:35], s[10:11], 2
	v_mad_u64_u32 v[5:6], null, s24, s10, v[1:2]
	s_add_u32 s34, s12, s34
	s_addc_u32 s35, s13, s35
	s_mul_i32 s33, s19, s10
	s_load_dword s31, s[34:35], 0x0
	s_mul_i32 s34, s24, s11
	v_mov_b32_e32 v8, v4
	v_mov_b32_e32 v19, v11
	;; [unrolled: 1-line block ×3, first 2 shown]
	v_add3_u32 v6, s34, s33, v6
	s_waitcnt lgkmcnt(0)
	s_sub_i32 s31, s31, s2
	s_mul_i32 s33, s31, s3
	s_mov_b32 s31, 0
	s_branch .LBB67_17
.LBB67_16:                              ;   in Loop: Header=BB67_17 Depth=3
	v_add_nc_u32_e32 v20, s33, v7
	v_lshlrev_b64 v[9:10], 1, v[9:10]
	v_add_nc_u32_e32 v19, s29, v19
	v_ashrrev_i32_e32 v21, 31, v20
	v_add_co_u32 v9, vcc_lo, s14, v9
	v_add_co_ci_u32_e64 v10, null, s15, v10, vcc_lo
	v_lshlrev_b64 v[20:21], 1, v[20:21]
	v_add_co_u32 v20, vcc_lo, s20, v20
	v_add_co_ci_u32_e64 v21, null, s21, v21, vcc_lo
	v_add_co_u32 v7, vcc_lo, v7, 16
	global_load_ushort v9, v[9:10], off
	global_load_ushort v10, v[20:21], off
	v_add_co_ci_u32_e64 v8, null, 0, v8, vcc_lo
	v_cmp_le_i32_e32 vcc_lo, s3, v7
	s_or_b32 s31, vcc_lo, s31
	s_waitcnt vmcnt(1)
	v_lshlrev_b32_e32 v9, 16, v9
	s_waitcnt vmcnt(0)
	v_lshlrev_b32_e32 v10, 16, v10
	v_fmac_f32_e32 v16, v9, v10
	s_andn2_b32 exec_lo, exec_lo, s31
	s_cbranch_execz .LBB67_12
.LBB67_17:                              ;   Parent Loop BB67_10 Depth=1
                                        ;     Parent Loop BB67_14 Depth=2
                                        ; =>    This Inner Loop Header: Depth=3
	s_and_b32 vcc_lo, exec_lo, s23
	s_cbranch_vccz .LBB67_19
; %bb.18:                               ;   in Loop: Header=BB67_17 Depth=3
	v_ashrrev_i32_e32 v10, 31, v19
	v_add_co_u32 v9, vcc_lo, v5, v19
	v_add_co_ci_u32_e64 v10, null, v6, v10, vcc_lo
	s_cbranch_execnz .LBB67_16
	s_branch .LBB67_20
.LBB67_19:                              ;   in Loop: Header=BB67_17 Depth=3
                                        ; implicit-def: $vgpr9_vgpr10
.LBB67_20:                              ;   in Loop: Header=BB67_17 Depth=3
	v_add_co_u32 v9, vcc_lo, v17, v7
	v_add_co_ci_u32_e64 v10, null, v18, v8, vcc_lo
	s_branch .LBB67_16
.LBB67_21:                              ;   in Loop: Header=BB67_10 Depth=1
	ds_bpermute_b32 v2, v12, v16
	s_waitcnt lgkmcnt(0)
	v_add_f32_e32 v2, v16, v2
	ds_bpermute_b32 v5, v13, v2
	s_waitcnt lgkmcnt(0)
	v_add_f32_e32 v2, v2, v5
	ds_bpermute_b32 v5, v14, v2
	s_waitcnt lgkmcnt(0)
	v_add_f32_e32 v2, v2, v5
	ds_bpermute_b32 v5, v15, v2
	s_and_saveexec_b32 s10, s1
	s_cbranch_execz .LBB67_9
; %bb.22:                               ;   in Loop: Header=BB67_10 Depth=1
	s_waitcnt lgkmcnt(0)
	v_add_f32_e32 v2, v2, v5
	v_add_nc_u32_e32 v5, s26, v1
	s_and_b32 vcc_lo, exec_lo, s25
	v_mul_f32_e32 v2, s16, v2
	v_ashrrev_i32_e32 v6, 31, v5
	s_cbranch_vccz .LBB67_24
; %bb.23:                               ;   in Loop: Header=BB67_10 Depth=1
	v_lshlrev_b64 v[7:8], 2, v[5:6]
	v_add_co_u32 v7, vcc_lo, s8, v7
	v_add_co_ci_u32_e64 v8, null, s9, v8, vcc_lo
	global_store_dword v[7:8], v2, off
	s_cbranch_execnz .LBB67_9
	s_branch .LBB67_25
.LBB67_24:                              ;   in Loop: Header=BB67_10 Depth=1
.LBB67_25:                              ;   in Loop: Header=BB67_10 Depth=1
	v_lshlrev_b64 v[5:6], 2, v[5:6]
	v_add_co_u32 v5, vcc_lo, s8, v5
	v_add_co_ci_u32_e64 v6, null, s9, v6, vcc_lo
	global_load_dword v7, v[5:6], off
	s_waitcnt vmcnt(0)
	v_fmac_f32_e32 v2, s18, v7
	global_store_dword v[5:6], v2, off
	s_branch .LBB67_9
.LBB67_26:
	s_endpgm
	.section	.rodata,"a",@progbits
	.p2align	6, 0x0
	.amdhsa_kernel _ZN9rocsparseL22bsrxmvn_general_kernelILj256ELj16Efli18rocsparse_bfloat16S1_fEEv20rocsparse_direction_NS_24const_host_device_scalarIT1_EET3_PKS6_PKT2_SB_S8_PKT4_S6_PKT5_S5_PT6_21rocsparse_index_base_b
		.amdhsa_group_segment_fixed_size 0
		.amdhsa_private_segment_fixed_size 0
		.amdhsa_kernarg_size 104
		.amdhsa_user_sgpr_count 6
		.amdhsa_user_sgpr_private_segment_buffer 1
		.amdhsa_user_sgpr_dispatch_ptr 0
		.amdhsa_user_sgpr_queue_ptr 0
		.amdhsa_user_sgpr_kernarg_segment_ptr 1
		.amdhsa_user_sgpr_dispatch_id 0
		.amdhsa_user_sgpr_flat_scratch_init 0
		.amdhsa_user_sgpr_private_segment_size 0
		.amdhsa_wavefront_size32 1
		.amdhsa_uses_dynamic_stack 0
		.amdhsa_system_sgpr_private_segment_wavefront_offset 0
		.amdhsa_system_sgpr_workgroup_id_x 1
		.amdhsa_system_sgpr_workgroup_id_y 0
		.amdhsa_system_sgpr_workgroup_id_z 0
		.amdhsa_system_sgpr_workgroup_info 0
		.amdhsa_system_vgpr_workitem_id 0
		.amdhsa_next_free_vgpr 22
		.amdhsa_next_free_sgpr 36
		.amdhsa_reserve_vcc 1
		.amdhsa_reserve_flat_scratch 0
		.amdhsa_float_round_mode_32 0
		.amdhsa_float_round_mode_16_64 0
		.amdhsa_float_denorm_mode_32 3
		.amdhsa_float_denorm_mode_16_64 3
		.amdhsa_dx10_clamp 1
		.amdhsa_ieee_mode 1
		.amdhsa_fp16_overflow 0
		.amdhsa_workgroup_processor_mode 1
		.amdhsa_memory_ordered 1
		.amdhsa_forward_progress 1
		.amdhsa_shared_vgpr_count 0
		.amdhsa_exception_fp_ieee_invalid_op 0
		.amdhsa_exception_fp_denorm_src 0
		.amdhsa_exception_fp_ieee_div_zero 0
		.amdhsa_exception_fp_ieee_overflow 0
		.amdhsa_exception_fp_ieee_underflow 0
		.amdhsa_exception_fp_ieee_inexact 0
		.amdhsa_exception_int_div_zero 0
	.end_amdhsa_kernel
	.section	.text._ZN9rocsparseL22bsrxmvn_general_kernelILj256ELj16Efli18rocsparse_bfloat16S1_fEEv20rocsparse_direction_NS_24const_host_device_scalarIT1_EET3_PKS6_PKT2_SB_S8_PKT4_S6_PKT5_S5_PT6_21rocsparse_index_base_b,"axG",@progbits,_ZN9rocsparseL22bsrxmvn_general_kernelILj256ELj16Efli18rocsparse_bfloat16S1_fEEv20rocsparse_direction_NS_24const_host_device_scalarIT1_EET3_PKS6_PKT2_SB_S8_PKT4_S6_PKT5_S5_PT6_21rocsparse_index_base_b,comdat
.Lfunc_end67:
	.size	_ZN9rocsparseL22bsrxmvn_general_kernelILj256ELj16Efli18rocsparse_bfloat16S1_fEEv20rocsparse_direction_NS_24const_host_device_scalarIT1_EET3_PKS6_PKT2_SB_S8_PKT4_S6_PKT5_S5_PT6_21rocsparse_index_base_b, .Lfunc_end67-_ZN9rocsparseL22bsrxmvn_general_kernelILj256ELj16Efli18rocsparse_bfloat16S1_fEEv20rocsparse_direction_NS_24const_host_device_scalarIT1_EET3_PKS6_PKT2_SB_S8_PKT4_S6_PKT5_S5_PT6_21rocsparse_index_base_b
                                        ; -- End function
	.set _ZN9rocsparseL22bsrxmvn_general_kernelILj256ELj16Efli18rocsparse_bfloat16S1_fEEv20rocsparse_direction_NS_24const_host_device_scalarIT1_EET3_PKS6_PKT2_SB_S8_PKT4_S6_PKT5_S5_PT6_21rocsparse_index_base_b.num_vgpr, 22
	.set _ZN9rocsparseL22bsrxmvn_general_kernelILj256ELj16Efli18rocsparse_bfloat16S1_fEEv20rocsparse_direction_NS_24const_host_device_scalarIT1_EET3_PKS6_PKT2_SB_S8_PKT4_S6_PKT5_S5_PT6_21rocsparse_index_base_b.num_agpr, 0
	.set _ZN9rocsparseL22bsrxmvn_general_kernelILj256ELj16Efli18rocsparse_bfloat16S1_fEEv20rocsparse_direction_NS_24const_host_device_scalarIT1_EET3_PKS6_PKT2_SB_S8_PKT4_S6_PKT5_S5_PT6_21rocsparse_index_base_b.numbered_sgpr, 36
	.set _ZN9rocsparseL22bsrxmvn_general_kernelILj256ELj16Efli18rocsparse_bfloat16S1_fEEv20rocsparse_direction_NS_24const_host_device_scalarIT1_EET3_PKS6_PKT2_SB_S8_PKT4_S6_PKT5_S5_PT6_21rocsparse_index_base_b.num_named_barrier, 0
	.set _ZN9rocsparseL22bsrxmvn_general_kernelILj256ELj16Efli18rocsparse_bfloat16S1_fEEv20rocsparse_direction_NS_24const_host_device_scalarIT1_EET3_PKS6_PKT2_SB_S8_PKT4_S6_PKT5_S5_PT6_21rocsparse_index_base_b.private_seg_size, 0
	.set _ZN9rocsparseL22bsrxmvn_general_kernelILj256ELj16Efli18rocsparse_bfloat16S1_fEEv20rocsparse_direction_NS_24const_host_device_scalarIT1_EET3_PKS6_PKT2_SB_S8_PKT4_S6_PKT5_S5_PT6_21rocsparse_index_base_b.uses_vcc, 1
	.set _ZN9rocsparseL22bsrxmvn_general_kernelILj256ELj16Efli18rocsparse_bfloat16S1_fEEv20rocsparse_direction_NS_24const_host_device_scalarIT1_EET3_PKS6_PKT2_SB_S8_PKT4_S6_PKT5_S5_PT6_21rocsparse_index_base_b.uses_flat_scratch, 0
	.set _ZN9rocsparseL22bsrxmvn_general_kernelILj256ELj16Efli18rocsparse_bfloat16S1_fEEv20rocsparse_direction_NS_24const_host_device_scalarIT1_EET3_PKS6_PKT2_SB_S8_PKT4_S6_PKT5_S5_PT6_21rocsparse_index_base_b.has_dyn_sized_stack, 0
	.set _ZN9rocsparseL22bsrxmvn_general_kernelILj256ELj16Efli18rocsparse_bfloat16S1_fEEv20rocsparse_direction_NS_24const_host_device_scalarIT1_EET3_PKS6_PKT2_SB_S8_PKT4_S6_PKT5_S5_PT6_21rocsparse_index_base_b.has_recursion, 0
	.set _ZN9rocsparseL22bsrxmvn_general_kernelILj256ELj16Efli18rocsparse_bfloat16S1_fEEv20rocsparse_direction_NS_24const_host_device_scalarIT1_EET3_PKS6_PKT2_SB_S8_PKT4_S6_PKT5_S5_PT6_21rocsparse_index_base_b.has_indirect_call, 0
	.section	.AMDGPU.csdata,"",@progbits
; Kernel info:
; codeLenInByte = 1084
; TotalNumSgprs: 38
; NumVgprs: 22
; ScratchSize: 0
; MemoryBound: 0
; FloatMode: 240
; IeeeMode: 1
; LDSByteSize: 0 bytes/workgroup (compile time only)
; SGPRBlocks: 0
; VGPRBlocks: 2
; NumSGPRsForWavesPerEU: 38
; NumVGPRsForWavesPerEU: 22
; Occupancy: 16
; WaveLimiterHint : 1
; COMPUTE_PGM_RSRC2:SCRATCH_EN: 0
; COMPUTE_PGM_RSRC2:USER_SGPR: 6
; COMPUTE_PGM_RSRC2:TRAP_HANDLER: 0
; COMPUTE_PGM_RSRC2:TGID_X_EN: 1
; COMPUTE_PGM_RSRC2:TGID_Y_EN: 0
; COMPUTE_PGM_RSRC2:TGID_Z_EN: 0
; COMPUTE_PGM_RSRC2:TIDIG_COMP_CNT: 0
	.section	.text._ZN9rocsparseL22bsrxmvn_general_kernelILj1024ELj32Efli18rocsparse_bfloat16S1_fEEv20rocsparse_direction_NS_24const_host_device_scalarIT1_EET3_PKS6_PKT2_SB_S8_PKT4_S6_PKT5_S5_PT6_21rocsparse_index_base_b,"axG",@progbits,_ZN9rocsparseL22bsrxmvn_general_kernelILj1024ELj32Efli18rocsparse_bfloat16S1_fEEv20rocsparse_direction_NS_24const_host_device_scalarIT1_EET3_PKS6_PKT2_SB_S8_PKT4_S6_PKT5_S5_PT6_21rocsparse_index_base_b,comdat
	.globl	_ZN9rocsparseL22bsrxmvn_general_kernelILj1024ELj32Efli18rocsparse_bfloat16S1_fEEv20rocsparse_direction_NS_24const_host_device_scalarIT1_EET3_PKS6_PKT2_SB_S8_PKT4_S6_PKT5_S5_PT6_21rocsparse_index_base_b ; -- Begin function _ZN9rocsparseL22bsrxmvn_general_kernelILj1024ELj32Efli18rocsparse_bfloat16S1_fEEv20rocsparse_direction_NS_24const_host_device_scalarIT1_EET3_PKS6_PKT2_SB_S8_PKT4_S6_PKT5_S5_PT6_21rocsparse_index_base_b
	.p2align	8
	.type	_ZN9rocsparseL22bsrxmvn_general_kernelILj1024ELj32Efli18rocsparse_bfloat16S1_fEEv20rocsparse_direction_NS_24const_host_device_scalarIT1_EET3_PKS6_PKT2_SB_S8_PKT4_S6_PKT5_S5_PT6_21rocsparse_index_base_b,@function
_ZN9rocsparseL22bsrxmvn_general_kernelILj1024ELj32Efli18rocsparse_bfloat16S1_fEEv20rocsparse_direction_NS_24const_host_device_scalarIT1_EET3_PKS6_PKT2_SB_S8_PKT4_S6_PKT5_S5_PT6_21rocsparse_index_base_b: ; @_ZN9rocsparseL22bsrxmvn_general_kernelILj1024ELj32Efli18rocsparse_bfloat16S1_fEEv20rocsparse_direction_NS_24const_host_device_scalarIT1_EET3_PKS6_PKT2_SB_S8_PKT4_S6_PKT5_S5_PT6_21rocsparse_index_base_b
; %bb.0:
	s_clause 0x2
	s_load_dwordx2 s[2:3], s[4:5], 0x60
	s_load_dwordx2 s[16:17], s[4:5], 0x8
	;; [unrolled: 1-line block ×3, first 2 shown]
	s_waitcnt lgkmcnt(0)
	s_bitcmp1_b32 s3, 0
	s_cselect_b32 s0, -1, 0
	s_and_b32 vcc_lo, exec_lo, s0
	s_xor_b32 s0, s0, -1
	s_cbranch_vccnz .LBB68_2
; %bb.1:
	s_load_dword s16, s[16:17], 0x0
.LBB68_2:
	s_andn2_b32 vcc_lo, exec_lo, s0
	s_cbranch_vccnz .LBB68_4
; %bb.3:
	s_load_dword s18, s[18:19], 0x0
.LBB68_4:
	s_waitcnt lgkmcnt(0)
	v_cmp_neq_f32_e64 s0, s16, 0
	v_cmp_neq_f32_e64 s1, s18, 1.0
	s_or_b32 s0, s0, s1
	s_andn2_b32 vcc_lo, exec_lo, s0
	s_cbranch_vccnz .LBB68_26
; %bb.5:
	s_load_dwordx2 s[0:1], s[4:5], 0x18
	s_waitcnt lgkmcnt(0)
	s_cmp_eq_u64 s[0:1], 0
	s_cbranch_scc1 .LBB68_7
; %bb.6:
	s_ashr_i32 s7, s6, 31
	s_lshl_b64 s[6:7], s[6:7], 2
	s_add_u32 s0, s0, s6
	s_addc_u32 s1, s1, s7
	s_load_dword s0, s[0:1], 0x0
	s_waitcnt lgkmcnt(0)
	s_sub_i32 s6, s0, s2
.LBB68_7:
	s_load_dword s3, s[4:5], 0x40
	v_lshrrev_b32_e32 v1, 5, v0
	s_mov_b32 s0, exec_lo
	s_waitcnt lgkmcnt(0)
	v_cmpx_gt_i32_e64 s3, v1
	s_cbranch_execz .LBB68_26
; %bb.8:
	s_load_dwordx8 s[8:15], s[4:5], 0x20
	s_ashr_i32 s7, s6, 31
	v_mbcnt_lo_u32_b32 v5, -1, 0
	s_lshl_b64 s[28:29], s[6:7], 3
	s_load_dword s27, s[4:5], 0x0
	s_mul_i32 s26, s6, s3
	v_and_b32_e32 v3, 31, v0
	v_xor_b32_e32 v6, 16, v5
	v_xor_b32_e32 v7, 8, v5
	v_xor_b32_e32 v8, 4, v5
	v_xor_b32_e32 v9, 2, v5
	v_xor_b32_e32 v10, 1, v5
	v_cmp_gt_i32_e32 vcc_lo, 32, v6
	v_mov_b32_e32 v2, 0
	s_mul_hi_u32 s19, s3, s3
	s_mul_i32 s24, s3, s3
	v_mul_lo_u32 v0, s3, v1
	v_cndmask_b32_e32 v6, v5, v6, vcc_lo
	v_cmp_gt_i32_e32 vcc_lo, 32, v7
	v_mul_lo_u32 v11, s3, v3
	s_waitcnt lgkmcnt(0)
	s_add_u32 s30, s8, s28
	s_addc_u32 s31, s9, s29
	v_cmp_eq_f32_e64 s25, s18, 0
	s_load_dwordx2 s[22:23], s[30:31], 0x0
	s_clause 0x1
	s_load_dwordx2 s[8:9], s[4:5], 0x58
	s_load_dwordx2 s[20:21], s[4:5], 0x48
	v_cndmask_b32_e32 v7, v5, v7, vcc_lo
	v_cmp_gt_i32_e32 vcc_lo, 32, v8
	v_cmp_gt_u32_e64 s0, s3, v3
	v_cmp_eq_u32_e64 s1, 31, v3
	v_mov_b32_e32 v4, v2
	v_lshlrev_b32_e32 v12, 2, v6
	v_cndmask_b32_e32 v8, v5, v8, vcc_lo
	v_cmp_gt_i32_e32 vcc_lo, 32, v9
	v_lshlrev_b32_e32 v13, 2, v7
	s_mov_b32 s17, 0
	v_lshlrev_b32_e32 v14, 2, v8
	v_cndmask_b32_e32 v9, v5, v9, vcc_lo
	v_cmp_gt_i32_e32 vcc_lo, 32, v10
	v_lshlrev_b32_e32 v15, 2, v9
	s_waitcnt lgkmcnt(0)
	s_sub_u32 s4, s22, s2
	s_subb_u32 s5, s23, 0
	s_add_u32 s6, s30, 8
	s_addc_u32 s7, s31, 0
	s_add_u32 s28, s10, s28
	s_addc_u32 s29, s11, s29
	s_cmp_eq_u64 s[10:11], 0
	v_cndmask_b32_e32 v5, v5, v10, vcc_lo
	s_cselect_b32 s7, s7, s29
	s_cselect_b32 s6, s6, s28
	s_mul_i32 s28, s4, s19
	s_load_dwordx2 s[10:11], s[6:7], 0x0
	s_mul_hi_u32 s29, s4, s24
	v_lshlrev_b32_e32 v16, 2, v5
	s_mul_i32 s30, s5, s24
	s_waitcnt lgkmcnt(0)
	s_sub_u32 s6, s10, s2
	s_subb_u32 s7, s11, 0
	s_cmp_lg_u32 s27, 0
	v_cmp_lt_i64_e64 s22, s[22:23], s[10:11]
	s_cselect_b32 s23, -1, 0
	s_add_i32 s10, s29, s28
	s_mul_i32 s27, s4, s24
	s_add_i32 s28, s10, s30
	s_lshl_b32 s29, s3, 5
	s_branch .LBB68_10
.LBB68_9:                               ;   in Loop: Header=BB68_10 Depth=1
	s_or_b32 exec_lo, exec_lo, s10
	v_add_nc_u32_e32 v1, 32, v1
	v_add_nc_u32_e32 v0, s29, v0
	v_cmp_le_i32_e32 vcc_lo, s3, v1
	s_or_b32 s17, vcc_lo, s17
	s_andn2_b32 exec_lo, exec_lo, s17
	s_cbranch_execz .LBB68_26
.LBB68_10:                              ; =>This Loop Header: Depth=1
                                        ;     Child Loop BB68_14 Depth 2
                                        ;       Child Loop BB68_17 Depth 3
	v_mov_b32_e32 v17, 0
	s_andn2_b32 vcc_lo, exec_lo, s22
	s_cbranch_vccnz .LBB68_21
; %bb.11:                               ;   in Loop: Header=BB68_10 Depth=1
	v_ashrrev_i32_e32 v5, 31, v0
	v_add_co_u32 v18, vcc_lo, s27, v0
	v_mov_b32_e32 v17, 0
	s_mov_b64 s[10:11], s[4:5]
	v_add_co_ci_u32_e64 v19, null, s28, v5, vcc_lo
	s_branch .LBB68_14
.LBB68_12:                              ;   in Loop: Header=BB68_14 Depth=2
	s_or_b32 exec_lo, exec_lo, s31
.LBB68_13:                              ;   in Loop: Header=BB68_14 Depth=2
	s_or_b32 exec_lo, exec_lo, s30
	s_add_u32 s10, s10, 1
	s_addc_u32 s11, s11, 0
	v_add_co_u32 v18, vcc_lo, v18, s24
	v_cmp_ge_i64_e64 s30, s[10:11], s[6:7]
	v_add_co_ci_u32_e64 v19, null, s19, v19, vcc_lo
	s_and_b32 vcc_lo, exec_lo, s30
	s_cbranch_vccnz .LBB68_21
.LBB68_14:                              ;   Parent Loop BB68_10 Depth=1
                                        ; =>  This Loop Header: Depth=2
                                        ;       Child Loop BB68_17 Depth 3
	s_and_saveexec_b32 s30, s0
	s_cbranch_execz .LBB68_13
; %bb.15:                               ;   in Loop: Header=BB68_14 Depth=2
	s_lshl_b64 s[34:35], s[10:11], 2
	s_waitcnt lgkmcnt(0)
	v_mad_u64_u32 v[5:6], null, s24, s10, v[1:2]
	s_add_u32 s34, s12, s34
	s_addc_u32 s35, s13, s35
	s_mul_i32 s33, s19, s10
	s_load_dword s31, s[34:35], 0x0
	s_mul_i32 s34, s24, s11
	v_mov_b32_e32 v8, v4
	v_mov_b32_e32 v20, v11
	;; [unrolled: 1-line block ×3, first 2 shown]
	v_add3_u32 v6, s34, s33, v6
	s_waitcnt lgkmcnt(0)
	s_sub_i32 s31, s31, s2
	s_mul_i32 s33, s31, s3
	s_mov_b32 s31, 0
	s_branch .LBB68_17
.LBB68_16:                              ;   in Loop: Header=BB68_17 Depth=3
	v_add_nc_u32_e32 v21, s33, v7
	v_lshlrev_b64 v[9:10], 1, v[9:10]
	v_add_nc_u32_e32 v20, s29, v20
	v_ashrrev_i32_e32 v22, 31, v21
	v_add_co_u32 v9, vcc_lo, s14, v9
	v_add_co_ci_u32_e64 v10, null, s15, v10, vcc_lo
	v_lshlrev_b64 v[21:22], 1, v[21:22]
	v_add_co_u32 v21, vcc_lo, s20, v21
	v_add_co_ci_u32_e64 v22, null, s21, v22, vcc_lo
	v_add_co_u32 v7, vcc_lo, v7, 32
	global_load_ushort v9, v[9:10], off
	global_load_ushort v10, v[21:22], off
	v_add_co_ci_u32_e64 v8, null, 0, v8, vcc_lo
	v_cmp_le_i32_e32 vcc_lo, s3, v7
	s_or_b32 s31, vcc_lo, s31
	s_waitcnt vmcnt(1)
	v_lshlrev_b32_e32 v9, 16, v9
	s_waitcnt vmcnt(0)
	v_lshlrev_b32_e32 v10, 16, v10
	v_fmac_f32_e32 v17, v9, v10
	s_andn2_b32 exec_lo, exec_lo, s31
	s_cbranch_execz .LBB68_12
.LBB68_17:                              ;   Parent Loop BB68_10 Depth=1
                                        ;     Parent Loop BB68_14 Depth=2
                                        ; =>    This Inner Loop Header: Depth=3
	s_and_b32 vcc_lo, exec_lo, s23
	s_cbranch_vccz .LBB68_19
; %bb.18:                               ;   in Loop: Header=BB68_17 Depth=3
	v_ashrrev_i32_e32 v10, 31, v20
	v_add_co_u32 v9, vcc_lo, v5, v20
	v_add_co_ci_u32_e64 v10, null, v6, v10, vcc_lo
	s_cbranch_execnz .LBB68_16
	s_branch .LBB68_20
.LBB68_19:                              ;   in Loop: Header=BB68_17 Depth=3
                                        ; implicit-def: $vgpr9_vgpr10
.LBB68_20:                              ;   in Loop: Header=BB68_17 Depth=3
	v_add_co_u32 v9, vcc_lo, v18, v7
	v_add_co_ci_u32_e64 v10, null, v19, v8, vcc_lo
	s_branch .LBB68_16
.LBB68_21:                              ;   in Loop: Header=BB68_10 Depth=1
	ds_bpermute_b32 v5, v12, v17
	s_waitcnt lgkmcnt(0)
	v_add_f32_e32 v5, v17, v5
	ds_bpermute_b32 v6, v13, v5
	s_waitcnt lgkmcnt(0)
	v_add_f32_e32 v5, v5, v6
	;; [unrolled: 3-line block ×4, first 2 shown]
	ds_bpermute_b32 v6, v16, v5
	s_and_saveexec_b32 s10, s1
	s_cbranch_execz .LBB68_9
; %bb.22:                               ;   in Loop: Header=BB68_10 Depth=1
	s_waitcnt lgkmcnt(0)
	v_add_f32_e32 v6, v5, v6
	v_add_nc_u32_e32 v5, s26, v1
	s_and_b32 vcc_lo, exec_lo, s25
	v_mul_f32_e32 v7, s16, v6
	v_ashrrev_i32_e32 v6, 31, v5
	s_cbranch_vccz .LBB68_24
; %bb.23:                               ;   in Loop: Header=BB68_10 Depth=1
	v_lshlrev_b64 v[8:9], 2, v[5:6]
	v_add_co_u32 v8, vcc_lo, s8, v8
	v_add_co_ci_u32_e64 v9, null, s9, v9, vcc_lo
	global_store_dword v[8:9], v7, off
	s_cbranch_execnz .LBB68_9
	s_branch .LBB68_25
.LBB68_24:                              ;   in Loop: Header=BB68_10 Depth=1
.LBB68_25:                              ;   in Loop: Header=BB68_10 Depth=1
	v_lshlrev_b64 v[5:6], 2, v[5:6]
	v_add_co_u32 v5, vcc_lo, s8, v5
	v_add_co_ci_u32_e64 v6, null, s9, v6, vcc_lo
	global_load_dword v8, v[5:6], off
	s_waitcnt vmcnt(0)
	v_fmac_f32_e32 v7, s18, v8
	global_store_dword v[5:6], v7, off
	s_branch .LBB68_9
.LBB68_26:
	s_endpgm
	.section	.rodata,"a",@progbits
	.p2align	6, 0x0
	.amdhsa_kernel _ZN9rocsparseL22bsrxmvn_general_kernelILj1024ELj32Efli18rocsparse_bfloat16S1_fEEv20rocsparse_direction_NS_24const_host_device_scalarIT1_EET3_PKS6_PKT2_SB_S8_PKT4_S6_PKT5_S5_PT6_21rocsparse_index_base_b
		.amdhsa_group_segment_fixed_size 0
		.amdhsa_private_segment_fixed_size 0
		.amdhsa_kernarg_size 104
		.amdhsa_user_sgpr_count 6
		.amdhsa_user_sgpr_private_segment_buffer 1
		.amdhsa_user_sgpr_dispatch_ptr 0
		.amdhsa_user_sgpr_queue_ptr 0
		.amdhsa_user_sgpr_kernarg_segment_ptr 1
		.amdhsa_user_sgpr_dispatch_id 0
		.amdhsa_user_sgpr_flat_scratch_init 0
		.amdhsa_user_sgpr_private_segment_size 0
		.amdhsa_wavefront_size32 1
		.amdhsa_uses_dynamic_stack 0
		.amdhsa_system_sgpr_private_segment_wavefront_offset 0
		.amdhsa_system_sgpr_workgroup_id_x 1
		.amdhsa_system_sgpr_workgroup_id_y 0
		.amdhsa_system_sgpr_workgroup_id_z 0
		.amdhsa_system_sgpr_workgroup_info 0
		.amdhsa_system_vgpr_workitem_id 0
		.amdhsa_next_free_vgpr 23
		.amdhsa_next_free_sgpr 36
		.amdhsa_reserve_vcc 1
		.amdhsa_reserve_flat_scratch 0
		.amdhsa_float_round_mode_32 0
		.amdhsa_float_round_mode_16_64 0
		.amdhsa_float_denorm_mode_32 3
		.amdhsa_float_denorm_mode_16_64 3
		.amdhsa_dx10_clamp 1
		.amdhsa_ieee_mode 1
		.amdhsa_fp16_overflow 0
		.amdhsa_workgroup_processor_mode 1
		.amdhsa_memory_ordered 1
		.amdhsa_forward_progress 1
		.amdhsa_shared_vgpr_count 0
		.amdhsa_exception_fp_ieee_invalid_op 0
		.amdhsa_exception_fp_denorm_src 0
		.amdhsa_exception_fp_ieee_div_zero 0
		.amdhsa_exception_fp_ieee_overflow 0
		.amdhsa_exception_fp_ieee_underflow 0
		.amdhsa_exception_fp_ieee_inexact 0
		.amdhsa_exception_int_div_zero 0
	.end_amdhsa_kernel
	.section	.text._ZN9rocsparseL22bsrxmvn_general_kernelILj1024ELj32Efli18rocsparse_bfloat16S1_fEEv20rocsparse_direction_NS_24const_host_device_scalarIT1_EET3_PKS6_PKT2_SB_S8_PKT4_S6_PKT5_S5_PT6_21rocsparse_index_base_b,"axG",@progbits,_ZN9rocsparseL22bsrxmvn_general_kernelILj1024ELj32Efli18rocsparse_bfloat16S1_fEEv20rocsparse_direction_NS_24const_host_device_scalarIT1_EET3_PKS6_PKT2_SB_S8_PKT4_S6_PKT5_S5_PT6_21rocsparse_index_base_b,comdat
.Lfunc_end68:
	.size	_ZN9rocsparseL22bsrxmvn_general_kernelILj1024ELj32Efli18rocsparse_bfloat16S1_fEEv20rocsparse_direction_NS_24const_host_device_scalarIT1_EET3_PKS6_PKT2_SB_S8_PKT4_S6_PKT5_S5_PT6_21rocsparse_index_base_b, .Lfunc_end68-_ZN9rocsparseL22bsrxmvn_general_kernelILj1024ELj32Efli18rocsparse_bfloat16S1_fEEv20rocsparse_direction_NS_24const_host_device_scalarIT1_EET3_PKS6_PKT2_SB_S8_PKT4_S6_PKT5_S5_PT6_21rocsparse_index_base_b
                                        ; -- End function
	.set _ZN9rocsparseL22bsrxmvn_general_kernelILj1024ELj32Efli18rocsparse_bfloat16S1_fEEv20rocsparse_direction_NS_24const_host_device_scalarIT1_EET3_PKS6_PKT2_SB_S8_PKT4_S6_PKT5_S5_PT6_21rocsparse_index_base_b.num_vgpr, 23
	.set _ZN9rocsparseL22bsrxmvn_general_kernelILj1024ELj32Efli18rocsparse_bfloat16S1_fEEv20rocsparse_direction_NS_24const_host_device_scalarIT1_EET3_PKS6_PKT2_SB_S8_PKT4_S6_PKT5_S5_PT6_21rocsparse_index_base_b.num_agpr, 0
	.set _ZN9rocsparseL22bsrxmvn_general_kernelILj1024ELj32Efli18rocsparse_bfloat16S1_fEEv20rocsparse_direction_NS_24const_host_device_scalarIT1_EET3_PKS6_PKT2_SB_S8_PKT4_S6_PKT5_S5_PT6_21rocsparse_index_base_b.numbered_sgpr, 36
	.set _ZN9rocsparseL22bsrxmvn_general_kernelILj1024ELj32Efli18rocsparse_bfloat16S1_fEEv20rocsparse_direction_NS_24const_host_device_scalarIT1_EET3_PKS6_PKT2_SB_S8_PKT4_S6_PKT5_S5_PT6_21rocsparse_index_base_b.num_named_barrier, 0
	.set _ZN9rocsparseL22bsrxmvn_general_kernelILj1024ELj32Efli18rocsparse_bfloat16S1_fEEv20rocsparse_direction_NS_24const_host_device_scalarIT1_EET3_PKS6_PKT2_SB_S8_PKT4_S6_PKT5_S5_PT6_21rocsparse_index_base_b.private_seg_size, 0
	.set _ZN9rocsparseL22bsrxmvn_general_kernelILj1024ELj32Efli18rocsparse_bfloat16S1_fEEv20rocsparse_direction_NS_24const_host_device_scalarIT1_EET3_PKS6_PKT2_SB_S8_PKT4_S6_PKT5_S5_PT6_21rocsparse_index_base_b.uses_vcc, 1
	.set _ZN9rocsparseL22bsrxmvn_general_kernelILj1024ELj32Efli18rocsparse_bfloat16S1_fEEv20rocsparse_direction_NS_24const_host_device_scalarIT1_EET3_PKS6_PKT2_SB_S8_PKT4_S6_PKT5_S5_PT6_21rocsparse_index_base_b.uses_flat_scratch, 0
	.set _ZN9rocsparseL22bsrxmvn_general_kernelILj1024ELj32Efli18rocsparse_bfloat16S1_fEEv20rocsparse_direction_NS_24const_host_device_scalarIT1_EET3_PKS6_PKT2_SB_S8_PKT4_S6_PKT5_S5_PT6_21rocsparse_index_base_b.has_dyn_sized_stack, 0
	.set _ZN9rocsparseL22bsrxmvn_general_kernelILj1024ELj32Efli18rocsparse_bfloat16S1_fEEv20rocsparse_direction_NS_24const_host_device_scalarIT1_EET3_PKS6_PKT2_SB_S8_PKT4_S6_PKT5_S5_PT6_21rocsparse_index_base_b.has_recursion, 0
	.set _ZN9rocsparseL22bsrxmvn_general_kernelILj1024ELj32Efli18rocsparse_bfloat16S1_fEEv20rocsparse_direction_NS_24const_host_device_scalarIT1_EET3_PKS6_PKT2_SB_S8_PKT4_S6_PKT5_S5_PT6_21rocsparse_index_base_b.has_indirect_call, 0
	.section	.AMDGPU.csdata,"",@progbits
; Kernel info:
; codeLenInByte = 1116
; TotalNumSgprs: 38
; NumVgprs: 23
; ScratchSize: 0
; MemoryBound: 0
; FloatMode: 240
; IeeeMode: 1
; LDSByteSize: 0 bytes/workgroup (compile time only)
; SGPRBlocks: 0
; VGPRBlocks: 2
; NumSGPRsForWavesPerEU: 38
; NumVGPRsForWavesPerEU: 23
; Occupancy: 16
; WaveLimiterHint : 1
; COMPUTE_PGM_RSRC2:SCRATCH_EN: 0
; COMPUTE_PGM_RSRC2:USER_SGPR: 6
; COMPUTE_PGM_RSRC2:TRAP_HANDLER: 0
; COMPUTE_PGM_RSRC2:TGID_X_EN: 1
; COMPUTE_PGM_RSRC2:TGID_Y_EN: 0
; COMPUTE_PGM_RSRC2:TGID_Z_EN: 0
; COMPUTE_PGM_RSRC2:TIDIG_COMP_CNT: 0
	.section	.text._ZN9rocsparseL22bsrxmvn_general_kernelILj64ELj8Efll18rocsparse_bfloat16S1_fEEv20rocsparse_direction_NS_24const_host_device_scalarIT1_EET3_PKS6_PKT2_SB_S8_PKT4_S6_PKT5_S5_PT6_21rocsparse_index_base_b,"axG",@progbits,_ZN9rocsparseL22bsrxmvn_general_kernelILj64ELj8Efll18rocsparse_bfloat16S1_fEEv20rocsparse_direction_NS_24const_host_device_scalarIT1_EET3_PKS6_PKT2_SB_S8_PKT4_S6_PKT5_S5_PT6_21rocsparse_index_base_b,comdat
	.globl	_ZN9rocsparseL22bsrxmvn_general_kernelILj64ELj8Efll18rocsparse_bfloat16S1_fEEv20rocsparse_direction_NS_24const_host_device_scalarIT1_EET3_PKS6_PKT2_SB_S8_PKT4_S6_PKT5_S5_PT6_21rocsparse_index_base_b ; -- Begin function _ZN9rocsparseL22bsrxmvn_general_kernelILj64ELj8Efll18rocsparse_bfloat16S1_fEEv20rocsparse_direction_NS_24const_host_device_scalarIT1_EET3_PKS6_PKT2_SB_S8_PKT4_S6_PKT5_S5_PT6_21rocsparse_index_base_b
	.p2align	8
	.type	_ZN9rocsparseL22bsrxmvn_general_kernelILj64ELj8Efll18rocsparse_bfloat16S1_fEEv20rocsparse_direction_NS_24const_host_device_scalarIT1_EET3_PKS6_PKT2_SB_S8_PKT4_S6_PKT5_S5_PT6_21rocsparse_index_base_b,@function
_ZN9rocsparseL22bsrxmvn_general_kernelILj64ELj8Efll18rocsparse_bfloat16S1_fEEv20rocsparse_direction_NS_24const_host_device_scalarIT1_EET3_PKS6_PKT2_SB_S8_PKT4_S6_PKT5_S5_PT6_21rocsparse_index_base_b: ; @_ZN9rocsparseL22bsrxmvn_general_kernelILj64ELj8Efll18rocsparse_bfloat16S1_fEEv20rocsparse_direction_NS_24const_host_device_scalarIT1_EET3_PKS6_PKT2_SB_S8_PKT4_S6_PKT5_S5_PT6_21rocsparse_index_base_b
; %bb.0:
	s_clause 0x2
	s_load_dwordx2 s[16:17], s[4:5], 0x60
	s_load_dwordx2 s[18:19], s[4:5], 0x8
	;; [unrolled: 1-line block ×3, first 2 shown]
	s_waitcnt lgkmcnt(0)
	s_bitcmp1_b32 s17, 0
	s_cselect_b32 s0, -1, 0
	s_and_b32 vcc_lo, exec_lo, s0
	s_xor_b32 s0, s0, -1
	s_cbranch_vccnz .LBB69_2
; %bb.1:
	s_load_dword s18, s[18:19], 0x0
.LBB69_2:
	s_andn2_b32 vcc_lo, exec_lo, s0
	s_cbranch_vccnz .LBB69_4
; %bb.3:
	s_load_dword s20, s[20:21], 0x0
.LBB69_4:
	s_waitcnt lgkmcnt(0)
	v_cmp_neq_f32_e64 s0, s18, 0
	v_cmp_neq_f32_e64 s1, s20, 1.0
	s_mov_b32 s7, 0
	s_or_b32 s0, s0, s1
	s_andn2_b32 vcc_lo, exec_lo, s0
	s_cbranch_vccnz .LBB69_26
; %bb.5:
	s_load_dwordx2 s[0:1], s[4:5], 0x18
	s_waitcnt lgkmcnt(0)
	s_cmp_eq_u64 s[0:1], 0
	s_cbranch_scc1 .LBB69_7
; %bb.6:
	s_lshl_b64 s[2:3], s[6:7], 3
	s_add_u32 s0, s0, s2
	s_addc_u32 s1, s1, s3
	s_load_dwordx2 s[0:1], s[0:1], 0x0
	s_waitcnt lgkmcnt(0)
	s_sub_u32 s6, s0, s16
	s_subb_u32 s7, s1, 0
.LBB69_7:
	s_load_dwordx2 s[22:23], s[4:5], 0x40
	v_lshrrev_b32_e32 v1, 3, v0
	v_mov_b32_e32 v2, 0
	s_mov_b32 s0, exec_lo
	s_waitcnt lgkmcnt(0)
	v_cmpx_gt_i64_e64 s[22:23], v[1:2]
	s_cbranch_execz .LBB69_26
; %bb.8:
	s_load_dwordx8 s[8:15], s[4:5], 0x20
	s_lshl_b64 s[26:27], s[6:7], 3
	v_and_b32_e32 v3, 7, v0
	v_mbcnt_lo_u32_b32 v0, -1, 0
	s_load_dword s21, s[4:5], 0x0
	s_mul_i32 s31, s6, s23
	s_mul_hi_u32 s33, s6, s22
	s_mul_i32 s30, s6, s22
	v_xor_b32_e32 v5, 4, v0
	s_mul_i32 s34, s7, s22
	v_xor_b32_e32 v6, 2, v0
	v_xor_b32_e32 v7, 1, v0
	v_lshlrev_b32_e32 v8, 1, v3
	v_cmp_gt_i32_e32 vcc_lo, 32, v5
	v_mov_b32_e32 v4, v2
	s_mul_i32 s35, s22, s23
	s_mul_hi_u32 s36, s22, s22
	v_cmp_eq_f32_e64 s19, s20, 0
	v_cndmask_b32_e32 v9, v0, v5, vcc_lo
	v_cmp_gt_i32_e32 vcc_lo, 32, v6
	s_waitcnt lgkmcnt(0)
	s_add_u32 s28, s8, s26
	s_addc_u32 s29, s9, s27
	v_cmp_gt_u64_e64 s0, s[22:23], v[3:4]
	s_load_dwordx2 s[8:9], s[28:29], 0x0
	s_clause 0x1
	s_load_dwordx2 s[2:3], s[4:5], 0x58
	s_load_dwordx2 s[24:25], s[4:5], 0x48
	v_cndmask_b32_e32 v10, v0, v6, vcc_lo
	v_cmp_gt_i32_e32 vcc_lo, 32, v7
	s_mov_b32 s17, 0
	v_lshlrev_b32_e32 v17, 2, v10
	v_cndmask_b32_e32 v7, v0, v7, vcc_lo
	v_lshlrev_b32_e32 v0, 2, v9
	v_lshlrev_b32_e32 v18, 2, v7
	s_waitcnt lgkmcnt(0)
	s_sub_u32 s4, s8, s16
	s_subb_u32 s5, s9, 0
	s_add_u32 s1, s28, 8
	s_addc_u32 s6, s29, 0
	s_add_u32 s26, s10, s26
	s_addc_u32 s7, s11, s27
	s_cmp_eq_u64 s[10:11], 0
	v_mad_u64_u32 v[5:6], null, s22, s4, v[1:2]
	s_cselect_b32 s7, s6, s7
	s_cselect_b32 s6, s1, s26
	v_cmp_eq_u32_e64 s1, 7, v3
	s_load_dwordx2 s[10:11], s[6:7], 0x0
	s_mul_i32 s6, s23, s4
	s_mul_i32 s7, s22, s5
	v_mul_lo_u32 v9, s23, v5
	v_add3_u32 v7, s7, s6, v6
	v_mad_u64_u32 v[5:6], null, s22, v5, 0
	s_mul_i32 s29, s22, s22
	v_mul_lo_u32 v10, s22, v7
	v_add_co_u32 v7, s24, s24, v8
	v_add_co_ci_u32_e64 v8, null, s25, 0, s24
	v_add3_u32 v6, v6, v10, v9
	s_waitcnt lgkmcnt(0)
	s_sub_u32 s6, s10, s16
	s_subb_u32 s7, s11, 0
	s_cmp_lg_u32 s21, 0
	s_cselect_b32 s21, -1, 0
	s_add_i32 s26, s33, s31
	s_add_i32 s31, s26, s34
	v_cmp_lt_i64_e64 s26, s[8:9], s[10:11]
	s_lshl_b64 s[24:25], s[30:31], 2
	s_add_u32 s27, s2, s24
	s_addc_u32 s3, s3, s25
	s_add_i32 s2, s36, s35
	s_lshl_b64 s[8:9], s[22:23], 1
	s_lshl_b64 s[10:11], s[22:23], 3
	s_add_i32 s28, s2, s35
	s_branch .LBB69_10
.LBB69_9:                               ;   in Loop: Header=BB69_10 Depth=1
	s_or_b32 exec_lo, exec_lo, s2
	v_add_co_u32 v1, vcc_lo, v1, 8
	v_add_co_ci_u32_e64 v2, null, 0, v2, vcc_lo
	v_add_co_u32 v5, s2, v5, s10
	v_add_co_ci_u32_e64 v6, null, s11, v6, s2
	v_cmp_le_i64_e32 vcc_lo, s[22:23], v[1:2]
	s_or_b32 s17, vcc_lo, s17
	s_andn2_b32 exec_lo, exec_lo, s17
	s_cbranch_execz .LBB69_26
.LBB69_10:                              ; =>This Loop Header: Depth=1
                                        ;     Child Loop BB69_14 Depth 2
                                        ;       Child Loop BB69_17 Depth 3
	v_mov_b32_e32 v19, 0
	s_andn2_b32 vcc_lo, exec_lo, s26
	s_cbranch_vccnz .LBB69_21
; %bb.11:                               ;   in Loop: Header=BB69_10 Depth=1
	s_waitcnt lgkmcnt(0)
	v_mov_b32_e32 v10, v6
	v_mov_b32_e32 v19, 0
	;; [unrolled: 1-line block ×3, first 2 shown]
	s_mov_b64 s[24:25], s[4:5]
	s_branch .LBB69_14
.LBB69_12:                              ;   in Loop: Header=BB69_14 Depth=2
	s_or_b32 exec_lo, exec_lo, s33
.LBB69_13:                              ;   in Loop: Header=BB69_14 Depth=2
	s_or_b32 exec_lo, exec_lo, s30
	s_add_u32 s24, s24, 1
	s_addc_u32 s25, s25, 0
	v_add_co_u32 v9, vcc_lo, v9, s29
	v_cmp_ge_i64_e64 s2, s[24:25], s[6:7]
	v_add_co_ci_u32_e64 v10, null, s28, v10, vcc_lo
	s_and_b32 vcc_lo, exec_lo, s2
	s_cbranch_vccnz .LBB69_21
.LBB69_14:                              ;   Parent Loop BB69_10 Depth=1
                                        ; =>  This Loop Header: Depth=2
                                        ;       Child Loop BB69_17 Depth 3
	s_and_saveexec_b32 s30, s0
	s_cbranch_execz .LBB69_13
; %bb.15:                               ;   in Loop: Header=BB69_14 Depth=2
	s_lshl_b64 s[34:35], s[24:25], 3
	s_mul_i32 s31, s24, s23
	s_add_u32 s34, s12, s34
	s_addc_u32 s35, s13, s35
	s_mul_hi_u32 s33, s24, s22
	s_load_dwordx2 s[34:35], s[34:35], 0x0
	v_mov_b32_e32 v14, v4
	v_mov_b32_e32 v13, v3
	s_waitcnt lgkmcnt(0)
	s_sub_u32 s2, s34, s16
	s_subb_u32 s35, s35, 0
	v_mad_u64_u32 v[11:12], null, s8, s2, v[7:8]
	s_mul_i32 s2, s9, s2
	s_mul_i32 s35, s8, s35
	;; [unrolled: 1-line block ×3, first 2 shown]
	s_add_i32 s31, s33, s31
	s_mov_b32 s33, 0
	s_add_i32 s31, s31, s34
	v_add3_u32 v12, s35, s2, v12
	s_mul_i32 s34, s24, s22
	s_branch .LBB69_17
.LBB69_16:                              ;   in Loop: Header=BB69_17 Depth=3
	v_lshlrev_b64 v[15:16], 1, v[15:16]
	v_add_co_u32 v15, vcc_lo, s14, v15
	v_add_co_ci_u32_e64 v16, null, s15, v16, vcc_lo
	v_add_co_u32 v13, vcc_lo, v13, 8
	global_load_ushort v20, v[11:12], off
	global_load_ushort v15, v[15:16], off
	v_add_co_ci_u32_e64 v14, null, 0, v14, vcc_lo
	v_add_co_u32 v11, s2, v11, 16
	v_add_co_ci_u32_e64 v12, null, 0, v12, s2
	v_cmp_le_i64_e32 vcc_lo, s[22:23], v[13:14]
	s_or_b32 s33, vcc_lo, s33
	s_waitcnt vmcnt(1)
	v_lshlrev_b32_e32 v16, 16, v20
	s_waitcnt vmcnt(0)
	v_lshlrev_b32_e32 v15, 16, v15
	v_fmac_f32_e32 v19, v15, v16
	s_andn2_b32 exec_lo, exec_lo, s33
	s_cbranch_execz .LBB69_12
.LBB69_17:                              ;   Parent Loop BB69_10 Depth=1
                                        ;     Parent Loop BB69_14 Depth=2
                                        ; =>    This Inner Loop Header: Depth=3
	s_and_b32 vcc_lo, exec_lo, s21
	s_cbranch_vccz .LBB69_19
; %bb.18:                               ;   in Loop: Header=BB69_17 Depth=3
	v_add_co_u32 v15, vcc_lo, v13, s34
	v_add_co_ci_u32_e64 v16, null, s31, v14, vcc_lo
	v_mul_lo_u32 v20, v15, s23
	v_mul_lo_u32 v21, v16, s22
	v_mad_u64_u32 v[15:16], null, v15, s22, v[1:2]
	v_add3_u32 v16, v21, v16, v20
	s_cbranch_execnz .LBB69_16
	s_branch .LBB69_20
.LBB69_19:                              ;   in Loop: Header=BB69_17 Depth=3
                                        ; implicit-def: $vgpr15_vgpr16
.LBB69_20:                              ;   in Loop: Header=BB69_17 Depth=3
	v_add_co_u32 v15, vcc_lo, v9, v13
	v_add_co_ci_u32_e64 v16, null, v10, v14, vcc_lo
	s_branch .LBB69_16
.LBB69_21:                              ;   in Loop: Header=BB69_10 Depth=1
	ds_bpermute_b32 v9, v0, v19
	s_waitcnt lgkmcnt(0)
	v_add_f32_e32 v9, v19, v9
	ds_bpermute_b32 v10, v17, v9
	s_waitcnt lgkmcnt(0)
	v_add_f32_e32 v9, v9, v10
	ds_bpermute_b32 v10, v18, v9
	s_and_saveexec_b32 s2, s1
	s_cbranch_execz .LBB69_9
; %bb.22:                               ;   in Loop: Header=BB69_10 Depth=1
	s_waitcnt lgkmcnt(0)
	v_add_f32_e32 v11, v9, v10
	v_lshlrev_b64 v[9:10], 2, v[1:2]
	s_and_b32 vcc_lo, exec_lo, s19
	v_mul_f32_e32 v11, s18, v11
	s_cbranch_vccz .LBB69_24
; %bb.23:                               ;   in Loop: Header=BB69_10 Depth=1
	v_add_co_u32 v12, vcc_lo, s27, v9
	v_add_co_ci_u32_e64 v13, null, s3, v10, vcc_lo
	global_store_dword v[12:13], v11, off
	s_cbranch_execnz .LBB69_9
	s_branch .LBB69_25
.LBB69_24:                              ;   in Loop: Header=BB69_10 Depth=1
.LBB69_25:                              ;   in Loop: Header=BB69_10 Depth=1
	v_add_co_u32 v9, vcc_lo, s27, v9
	v_add_co_ci_u32_e64 v10, null, s3, v10, vcc_lo
	global_load_dword v12, v[9:10], off
	s_waitcnt vmcnt(0)
	v_fmac_f32_e32 v11, s20, v12
	global_store_dword v[9:10], v11, off
	s_branch .LBB69_9
.LBB69_26:
	s_endpgm
	.section	.rodata,"a",@progbits
	.p2align	6, 0x0
	.amdhsa_kernel _ZN9rocsparseL22bsrxmvn_general_kernelILj64ELj8Efll18rocsparse_bfloat16S1_fEEv20rocsparse_direction_NS_24const_host_device_scalarIT1_EET3_PKS6_PKT2_SB_S8_PKT4_S6_PKT5_S5_PT6_21rocsparse_index_base_b
		.amdhsa_group_segment_fixed_size 0
		.amdhsa_private_segment_fixed_size 0
		.amdhsa_kernarg_size 104
		.amdhsa_user_sgpr_count 6
		.amdhsa_user_sgpr_private_segment_buffer 1
		.amdhsa_user_sgpr_dispatch_ptr 0
		.amdhsa_user_sgpr_queue_ptr 0
		.amdhsa_user_sgpr_kernarg_segment_ptr 1
		.amdhsa_user_sgpr_dispatch_id 0
		.amdhsa_user_sgpr_flat_scratch_init 0
		.amdhsa_user_sgpr_private_segment_size 0
		.amdhsa_wavefront_size32 1
		.amdhsa_uses_dynamic_stack 0
		.amdhsa_system_sgpr_private_segment_wavefront_offset 0
		.amdhsa_system_sgpr_workgroup_id_x 1
		.amdhsa_system_sgpr_workgroup_id_y 0
		.amdhsa_system_sgpr_workgroup_id_z 0
		.amdhsa_system_sgpr_workgroup_info 0
		.amdhsa_system_vgpr_workitem_id 0
		.amdhsa_next_free_vgpr 22
		.amdhsa_next_free_sgpr 37
		.amdhsa_reserve_vcc 1
		.amdhsa_reserve_flat_scratch 0
		.amdhsa_float_round_mode_32 0
		.amdhsa_float_round_mode_16_64 0
		.amdhsa_float_denorm_mode_32 3
		.amdhsa_float_denorm_mode_16_64 3
		.amdhsa_dx10_clamp 1
		.amdhsa_ieee_mode 1
		.amdhsa_fp16_overflow 0
		.amdhsa_workgroup_processor_mode 1
		.amdhsa_memory_ordered 1
		.amdhsa_forward_progress 1
		.amdhsa_shared_vgpr_count 0
		.amdhsa_exception_fp_ieee_invalid_op 0
		.amdhsa_exception_fp_denorm_src 0
		.amdhsa_exception_fp_ieee_div_zero 0
		.amdhsa_exception_fp_ieee_overflow 0
		.amdhsa_exception_fp_ieee_underflow 0
		.amdhsa_exception_fp_ieee_inexact 0
		.amdhsa_exception_int_div_zero 0
	.end_amdhsa_kernel
	.section	.text._ZN9rocsparseL22bsrxmvn_general_kernelILj64ELj8Efll18rocsparse_bfloat16S1_fEEv20rocsparse_direction_NS_24const_host_device_scalarIT1_EET3_PKS6_PKT2_SB_S8_PKT4_S6_PKT5_S5_PT6_21rocsparse_index_base_b,"axG",@progbits,_ZN9rocsparseL22bsrxmvn_general_kernelILj64ELj8Efll18rocsparse_bfloat16S1_fEEv20rocsparse_direction_NS_24const_host_device_scalarIT1_EET3_PKS6_PKT2_SB_S8_PKT4_S6_PKT5_S5_PT6_21rocsparse_index_base_b,comdat
.Lfunc_end69:
	.size	_ZN9rocsparseL22bsrxmvn_general_kernelILj64ELj8Efll18rocsparse_bfloat16S1_fEEv20rocsparse_direction_NS_24const_host_device_scalarIT1_EET3_PKS6_PKT2_SB_S8_PKT4_S6_PKT5_S5_PT6_21rocsparse_index_base_b, .Lfunc_end69-_ZN9rocsparseL22bsrxmvn_general_kernelILj64ELj8Efll18rocsparse_bfloat16S1_fEEv20rocsparse_direction_NS_24const_host_device_scalarIT1_EET3_PKS6_PKT2_SB_S8_PKT4_S6_PKT5_S5_PT6_21rocsparse_index_base_b
                                        ; -- End function
	.set _ZN9rocsparseL22bsrxmvn_general_kernelILj64ELj8Efll18rocsparse_bfloat16S1_fEEv20rocsparse_direction_NS_24const_host_device_scalarIT1_EET3_PKS6_PKT2_SB_S8_PKT4_S6_PKT5_S5_PT6_21rocsparse_index_base_b.num_vgpr, 22
	.set _ZN9rocsparseL22bsrxmvn_general_kernelILj64ELj8Efll18rocsparse_bfloat16S1_fEEv20rocsparse_direction_NS_24const_host_device_scalarIT1_EET3_PKS6_PKT2_SB_S8_PKT4_S6_PKT5_S5_PT6_21rocsparse_index_base_b.num_agpr, 0
	.set _ZN9rocsparseL22bsrxmvn_general_kernelILj64ELj8Efll18rocsparse_bfloat16S1_fEEv20rocsparse_direction_NS_24const_host_device_scalarIT1_EET3_PKS6_PKT2_SB_S8_PKT4_S6_PKT5_S5_PT6_21rocsparse_index_base_b.numbered_sgpr, 37
	.set _ZN9rocsparseL22bsrxmvn_general_kernelILj64ELj8Efll18rocsparse_bfloat16S1_fEEv20rocsparse_direction_NS_24const_host_device_scalarIT1_EET3_PKS6_PKT2_SB_S8_PKT4_S6_PKT5_S5_PT6_21rocsparse_index_base_b.num_named_barrier, 0
	.set _ZN9rocsparseL22bsrxmvn_general_kernelILj64ELj8Efll18rocsparse_bfloat16S1_fEEv20rocsparse_direction_NS_24const_host_device_scalarIT1_EET3_PKS6_PKT2_SB_S8_PKT4_S6_PKT5_S5_PT6_21rocsparse_index_base_b.private_seg_size, 0
	.set _ZN9rocsparseL22bsrxmvn_general_kernelILj64ELj8Efll18rocsparse_bfloat16S1_fEEv20rocsparse_direction_NS_24const_host_device_scalarIT1_EET3_PKS6_PKT2_SB_S8_PKT4_S6_PKT5_S5_PT6_21rocsparse_index_base_b.uses_vcc, 1
	.set _ZN9rocsparseL22bsrxmvn_general_kernelILj64ELj8Efll18rocsparse_bfloat16S1_fEEv20rocsparse_direction_NS_24const_host_device_scalarIT1_EET3_PKS6_PKT2_SB_S8_PKT4_S6_PKT5_S5_PT6_21rocsparse_index_base_b.uses_flat_scratch, 0
	.set _ZN9rocsparseL22bsrxmvn_general_kernelILj64ELj8Efll18rocsparse_bfloat16S1_fEEv20rocsparse_direction_NS_24const_host_device_scalarIT1_EET3_PKS6_PKT2_SB_S8_PKT4_S6_PKT5_S5_PT6_21rocsparse_index_base_b.has_dyn_sized_stack, 0
	.set _ZN9rocsparseL22bsrxmvn_general_kernelILj64ELj8Efll18rocsparse_bfloat16S1_fEEv20rocsparse_direction_NS_24const_host_device_scalarIT1_EET3_PKS6_PKT2_SB_S8_PKT4_S6_PKT5_S5_PT6_21rocsparse_index_base_b.has_recursion, 0
	.set _ZN9rocsparseL22bsrxmvn_general_kernelILj64ELj8Efll18rocsparse_bfloat16S1_fEEv20rocsparse_direction_NS_24const_host_device_scalarIT1_EET3_PKS6_PKT2_SB_S8_PKT4_S6_PKT5_S5_PT6_21rocsparse_index_base_b.has_indirect_call, 0
	.section	.AMDGPU.csdata,"",@progbits
; Kernel info:
; codeLenInByte = 1160
; TotalNumSgprs: 39
; NumVgprs: 22
; ScratchSize: 0
; MemoryBound: 0
; FloatMode: 240
; IeeeMode: 1
; LDSByteSize: 0 bytes/workgroup (compile time only)
; SGPRBlocks: 0
; VGPRBlocks: 2
; NumSGPRsForWavesPerEU: 39
; NumVGPRsForWavesPerEU: 22
; Occupancy: 16
; WaveLimiterHint : 0
; COMPUTE_PGM_RSRC2:SCRATCH_EN: 0
; COMPUTE_PGM_RSRC2:USER_SGPR: 6
; COMPUTE_PGM_RSRC2:TRAP_HANDLER: 0
; COMPUTE_PGM_RSRC2:TGID_X_EN: 1
; COMPUTE_PGM_RSRC2:TGID_Y_EN: 0
; COMPUTE_PGM_RSRC2:TGID_Z_EN: 0
; COMPUTE_PGM_RSRC2:TIDIG_COMP_CNT: 0
	.section	.text._ZN9rocsparseL22bsrxmvn_general_kernelILj256ELj16Efll18rocsparse_bfloat16S1_fEEv20rocsparse_direction_NS_24const_host_device_scalarIT1_EET3_PKS6_PKT2_SB_S8_PKT4_S6_PKT5_S5_PT6_21rocsparse_index_base_b,"axG",@progbits,_ZN9rocsparseL22bsrxmvn_general_kernelILj256ELj16Efll18rocsparse_bfloat16S1_fEEv20rocsparse_direction_NS_24const_host_device_scalarIT1_EET3_PKS6_PKT2_SB_S8_PKT4_S6_PKT5_S5_PT6_21rocsparse_index_base_b,comdat
	.globl	_ZN9rocsparseL22bsrxmvn_general_kernelILj256ELj16Efll18rocsparse_bfloat16S1_fEEv20rocsparse_direction_NS_24const_host_device_scalarIT1_EET3_PKS6_PKT2_SB_S8_PKT4_S6_PKT5_S5_PT6_21rocsparse_index_base_b ; -- Begin function _ZN9rocsparseL22bsrxmvn_general_kernelILj256ELj16Efll18rocsparse_bfloat16S1_fEEv20rocsparse_direction_NS_24const_host_device_scalarIT1_EET3_PKS6_PKT2_SB_S8_PKT4_S6_PKT5_S5_PT6_21rocsparse_index_base_b
	.p2align	8
	.type	_ZN9rocsparseL22bsrxmvn_general_kernelILj256ELj16Efll18rocsparse_bfloat16S1_fEEv20rocsparse_direction_NS_24const_host_device_scalarIT1_EET3_PKS6_PKT2_SB_S8_PKT4_S6_PKT5_S5_PT6_21rocsparse_index_base_b,@function
_ZN9rocsparseL22bsrxmvn_general_kernelILj256ELj16Efll18rocsparse_bfloat16S1_fEEv20rocsparse_direction_NS_24const_host_device_scalarIT1_EET3_PKS6_PKT2_SB_S8_PKT4_S6_PKT5_S5_PT6_21rocsparse_index_base_b: ; @_ZN9rocsparseL22bsrxmvn_general_kernelILj256ELj16Efll18rocsparse_bfloat16S1_fEEv20rocsparse_direction_NS_24const_host_device_scalarIT1_EET3_PKS6_PKT2_SB_S8_PKT4_S6_PKT5_S5_PT6_21rocsparse_index_base_b
; %bb.0:
	s_clause 0x2
	s_load_dwordx2 s[16:17], s[4:5], 0x60
	s_load_dwordx2 s[18:19], s[4:5], 0x8
	;; [unrolled: 1-line block ×3, first 2 shown]
	s_waitcnt lgkmcnt(0)
	s_bitcmp1_b32 s17, 0
	s_cselect_b32 s0, -1, 0
	s_and_b32 vcc_lo, exec_lo, s0
	s_xor_b32 s0, s0, -1
	s_cbranch_vccnz .LBB70_2
; %bb.1:
	s_load_dword s18, s[18:19], 0x0
.LBB70_2:
	s_andn2_b32 vcc_lo, exec_lo, s0
	s_cbranch_vccnz .LBB70_4
; %bb.3:
	s_load_dword s20, s[20:21], 0x0
.LBB70_4:
	s_waitcnt lgkmcnt(0)
	v_cmp_neq_f32_e64 s0, s18, 0
	v_cmp_neq_f32_e64 s1, s20, 1.0
	s_mov_b32 s7, 0
	s_or_b32 s0, s0, s1
	s_andn2_b32 vcc_lo, exec_lo, s0
	s_cbranch_vccnz .LBB70_26
; %bb.5:
	s_load_dwordx2 s[0:1], s[4:5], 0x18
	s_waitcnt lgkmcnt(0)
	s_cmp_eq_u64 s[0:1], 0
	s_cbranch_scc1 .LBB70_7
; %bb.6:
	s_lshl_b64 s[2:3], s[6:7], 3
	s_add_u32 s0, s0, s2
	s_addc_u32 s1, s1, s3
	s_load_dwordx2 s[0:1], s[0:1], 0x0
	s_waitcnt lgkmcnt(0)
	s_sub_u32 s6, s0, s16
	s_subb_u32 s7, s1, 0
.LBB70_7:
	s_load_dwordx2 s[22:23], s[4:5], 0x40
	v_lshrrev_b32_e32 v1, 4, v0
	v_mov_b32_e32 v2, 0
	s_mov_b32 s0, exec_lo
	s_waitcnt lgkmcnt(0)
	v_cmpx_gt_i64_e64 s[22:23], v[1:2]
	s_cbranch_execz .LBB70_26
; %bb.8:
	s_load_dwordx8 s[8:15], s[4:5], 0x20
	s_lshl_b64 s[26:27], s[6:7], 3
	v_and_b32_e32 v3, 15, v0
	v_mbcnt_lo_u32_b32 v0, -1, 0
	s_load_dword s21, s[4:5], 0x0
	s_mul_i32 s31, s6, s23
	s_mul_hi_u32 s33, s6, s22
	s_mul_i32 s30, s6, s22
	v_xor_b32_e32 v5, 8, v0
	s_mul_i32 s34, s7, s22
	v_xor_b32_e32 v6, 4, v0
	v_xor_b32_e32 v7, 2, v0
	;; [unrolled: 1-line block ×3, first 2 shown]
	v_cmp_gt_i32_e32 vcc_lo, 32, v5
	v_lshlrev_b32_e32 v9, 1, v3
	v_mov_b32_e32 v4, v2
	s_mul_i32 s35, s22, s23
	s_mul_hi_u32 s36, s22, s22
	v_cndmask_b32_e32 v10, v0, v5, vcc_lo
	v_cmp_gt_i32_e32 vcc_lo, 32, v6
	s_waitcnt lgkmcnt(0)
	s_add_u32 s28, s8, s26
	s_addc_u32 s29, s9, s27
	v_cmp_gt_u64_e64 s0, s[22:23], v[3:4]
	s_load_dwordx2 s[8:9], s[28:29], 0x0
	s_clause 0x1
	s_load_dwordx2 s[2:3], s[4:5], 0x58
	s_load_dwordx2 s[24:25], s[4:5], 0x48
	v_cndmask_b32_e32 v11, v0, v6, vcc_lo
	v_cmp_gt_i32_e32 vcc_lo, 32, v7
	v_cmp_eq_f32_e64 s19, s20, 0
	v_cmp_eq_u32_e64 s1, 15, v3
	s_mov_b32 s17, 0
	v_lshlrev_b32_e32 v17, 2, v11
	v_cndmask_b32_e32 v7, v0, v7, vcc_lo
	v_cmp_gt_i32_e32 vcc_lo, 32, v8
	v_lshlrev_b32_e32 v18, 2, v7
	v_cndmask_b32_e32 v8, v0, v8, vcc_lo
	v_lshlrev_b32_e32 v0, 2, v10
	v_lshlrev_b32_e32 v19, 2, v8
	s_waitcnt lgkmcnt(0)
	s_sub_u32 s4, s8, s16
	s_subb_u32 s5, s9, 0
	s_add_u32 s6, s28, 8
	s_addc_u32 s7, s29, 0
	s_add_u32 s26, s10, s26
	s_addc_u32 s27, s11, s27
	s_cmp_eq_u64 s[10:11], 0
	v_mad_u64_u32 v[5:6], null, s22, s4, v[1:2]
	s_cselect_b32 s7, s7, s27
	s_cselect_b32 s6, s6, s26
	s_mul_i32 s29, s22, s22
	s_load_dwordx2 s[10:11], s[6:7], 0x0
	s_mul_i32 s6, s23, s4
	s_mul_i32 s7, s22, s5
	v_mul_lo_u32 v10, s23, v5
	v_add3_u32 v7, s7, s6, v6
	v_mad_u64_u32 v[5:6], null, s22, v5, 0
	v_mul_lo_u32 v11, s22, v7
	v_add_co_u32 v7, s24, s24, v9
	v_add_co_ci_u32_e64 v8, null, s25, 0, s24
	v_add3_u32 v6, v6, v11, v10
	s_waitcnt lgkmcnt(0)
	s_sub_u32 s6, s10, s16
	s_subb_u32 s7, s11, 0
	s_cmp_lg_u32 s21, 0
	s_cselect_b32 s21, -1, 0
	s_add_i32 s26, s33, s31
	s_add_i32 s31, s26, s34
	v_cmp_lt_i64_e64 s26, s[8:9], s[10:11]
	s_lshl_b64 s[24:25], s[30:31], 2
	s_add_u32 s27, s2, s24
	s_addc_u32 s3, s3, s25
	s_add_i32 s2, s36, s35
	s_lshl_b64 s[8:9], s[22:23], 1
	s_lshl_b64 s[10:11], s[22:23], 4
	s_add_i32 s28, s2, s35
	s_branch .LBB70_10
.LBB70_9:                               ;   in Loop: Header=BB70_10 Depth=1
	s_or_b32 exec_lo, exec_lo, s2
	v_add_co_u32 v1, vcc_lo, v1, 16
	v_add_co_ci_u32_e64 v2, null, 0, v2, vcc_lo
	v_add_co_u32 v5, s2, v5, s10
	v_add_co_ci_u32_e64 v6, null, s11, v6, s2
	v_cmp_le_i64_e32 vcc_lo, s[22:23], v[1:2]
	s_or_b32 s17, vcc_lo, s17
	s_andn2_b32 exec_lo, exec_lo, s17
	s_cbranch_execz .LBB70_26
.LBB70_10:                              ; =>This Loop Header: Depth=1
                                        ;     Child Loop BB70_14 Depth 2
                                        ;       Child Loop BB70_17 Depth 3
	v_mov_b32_e32 v20, 0
	s_andn2_b32 vcc_lo, exec_lo, s26
	s_cbranch_vccnz .LBB70_21
; %bb.11:                               ;   in Loop: Header=BB70_10 Depth=1
	s_waitcnt lgkmcnt(0)
	v_mov_b32_e32 v10, v6
	v_mov_b32_e32 v20, 0
	;; [unrolled: 1-line block ×3, first 2 shown]
	s_mov_b64 s[24:25], s[4:5]
	s_branch .LBB70_14
.LBB70_12:                              ;   in Loop: Header=BB70_14 Depth=2
	s_or_b32 exec_lo, exec_lo, s33
.LBB70_13:                              ;   in Loop: Header=BB70_14 Depth=2
	s_or_b32 exec_lo, exec_lo, s30
	s_add_u32 s24, s24, 1
	s_addc_u32 s25, s25, 0
	v_add_co_u32 v9, vcc_lo, v9, s29
	v_cmp_ge_i64_e64 s2, s[24:25], s[6:7]
	v_add_co_ci_u32_e64 v10, null, s28, v10, vcc_lo
	s_and_b32 vcc_lo, exec_lo, s2
	s_cbranch_vccnz .LBB70_21
.LBB70_14:                              ;   Parent Loop BB70_10 Depth=1
                                        ; =>  This Loop Header: Depth=2
                                        ;       Child Loop BB70_17 Depth 3
	s_and_saveexec_b32 s30, s0
	s_cbranch_execz .LBB70_13
; %bb.15:                               ;   in Loop: Header=BB70_14 Depth=2
	s_lshl_b64 s[34:35], s[24:25], 3
	s_mul_i32 s31, s24, s23
	s_add_u32 s34, s12, s34
	s_addc_u32 s35, s13, s35
	s_mul_hi_u32 s33, s24, s22
	s_load_dwordx2 s[34:35], s[34:35], 0x0
	v_mov_b32_e32 v14, v4
	v_mov_b32_e32 v13, v3
	s_waitcnt lgkmcnt(0)
	s_sub_u32 s2, s34, s16
	s_subb_u32 s35, s35, 0
	v_mad_u64_u32 v[11:12], null, s8, s2, v[7:8]
	s_mul_i32 s2, s9, s2
	s_mul_i32 s35, s8, s35
	;; [unrolled: 1-line block ×3, first 2 shown]
	s_add_i32 s31, s33, s31
	s_mov_b32 s33, 0
	s_add_i32 s31, s31, s34
	v_add3_u32 v12, s35, s2, v12
	s_mul_i32 s34, s24, s22
	s_branch .LBB70_17
.LBB70_16:                              ;   in Loop: Header=BB70_17 Depth=3
	v_lshlrev_b64 v[15:16], 1, v[15:16]
	v_add_co_u32 v15, vcc_lo, s14, v15
	v_add_co_ci_u32_e64 v16, null, s15, v16, vcc_lo
	v_add_co_u32 v13, vcc_lo, v13, 16
	global_load_ushort v21, v[11:12], off
	global_load_ushort v15, v[15:16], off
	v_add_co_ci_u32_e64 v14, null, 0, v14, vcc_lo
	v_add_co_u32 v11, s2, v11, 32
	v_add_co_ci_u32_e64 v12, null, 0, v12, s2
	v_cmp_le_i64_e32 vcc_lo, s[22:23], v[13:14]
	s_or_b32 s33, vcc_lo, s33
	s_waitcnt vmcnt(1)
	v_lshlrev_b32_e32 v16, 16, v21
	s_waitcnt vmcnt(0)
	v_lshlrev_b32_e32 v15, 16, v15
	v_fmac_f32_e32 v20, v15, v16
	s_andn2_b32 exec_lo, exec_lo, s33
	s_cbranch_execz .LBB70_12
.LBB70_17:                              ;   Parent Loop BB70_10 Depth=1
                                        ;     Parent Loop BB70_14 Depth=2
                                        ; =>    This Inner Loop Header: Depth=3
	s_and_b32 vcc_lo, exec_lo, s21
	s_cbranch_vccz .LBB70_19
; %bb.18:                               ;   in Loop: Header=BB70_17 Depth=3
	v_add_co_u32 v15, vcc_lo, v13, s34
	v_add_co_ci_u32_e64 v16, null, s31, v14, vcc_lo
	v_mul_lo_u32 v21, v15, s23
	v_mul_lo_u32 v22, v16, s22
	v_mad_u64_u32 v[15:16], null, v15, s22, v[1:2]
	v_add3_u32 v16, v22, v16, v21
	s_cbranch_execnz .LBB70_16
	s_branch .LBB70_20
.LBB70_19:                              ;   in Loop: Header=BB70_17 Depth=3
                                        ; implicit-def: $vgpr15_vgpr16
.LBB70_20:                              ;   in Loop: Header=BB70_17 Depth=3
	v_add_co_u32 v15, vcc_lo, v9, v13
	v_add_co_ci_u32_e64 v16, null, v10, v14, vcc_lo
	s_branch .LBB70_16
.LBB70_21:                              ;   in Loop: Header=BB70_10 Depth=1
	ds_bpermute_b32 v9, v0, v20
	s_waitcnt lgkmcnt(0)
	v_add_f32_e32 v9, v20, v9
	ds_bpermute_b32 v10, v17, v9
	s_waitcnt lgkmcnt(0)
	v_add_f32_e32 v9, v9, v10
	;; [unrolled: 3-line block ×3, first 2 shown]
	ds_bpermute_b32 v10, v19, v9
	s_and_saveexec_b32 s2, s1
	s_cbranch_execz .LBB70_9
; %bb.22:                               ;   in Loop: Header=BB70_10 Depth=1
	s_waitcnt lgkmcnt(0)
	v_add_f32_e32 v11, v9, v10
	v_lshlrev_b64 v[9:10], 2, v[1:2]
	s_and_b32 vcc_lo, exec_lo, s19
	v_mul_f32_e32 v11, s18, v11
	s_cbranch_vccz .LBB70_24
; %bb.23:                               ;   in Loop: Header=BB70_10 Depth=1
	v_add_co_u32 v12, vcc_lo, s27, v9
	v_add_co_ci_u32_e64 v13, null, s3, v10, vcc_lo
	global_store_dword v[12:13], v11, off
	s_cbranch_execnz .LBB70_9
	s_branch .LBB70_25
.LBB70_24:                              ;   in Loop: Header=BB70_10 Depth=1
.LBB70_25:                              ;   in Loop: Header=BB70_10 Depth=1
	v_add_co_u32 v9, vcc_lo, s27, v9
	v_add_co_ci_u32_e64 v10, null, s3, v10, vcc_lo
	global_load_dword v12, v[9:10], off
	s_waitcnt vmcnt(0)
	v_fmac_f32_e32 v11, s20, v12
	global_store_dword v[9:10], v11, off
	s_branch .LBB70_9
.LBB70_26:
	s_endpgm
	.section	.rodata,"a",@progbits
	.p2align	6, 0x0
	.amdhsa_kernel _ZN9rocsparseL22bsrxmvn_general_kernelILj256ELj16Efll18rocsparse_bfloat16S1_fEEv20rocsparse_direction_NS_24const_host_device_scalarIT1_EET3_PKS6_PKT2_SB_S8_PKT4_S6_PKT5_S5_PT6_21rocsparse_index_base_b
		.amdhsa_group_segment_fixed_size 0
		.amdhsa_private_segment_fixed_size 0
		.amdhsa_kernarg_size 104
		.amdhsa_user_sgpr_count 6
		.amdhsa_user_sgpr_private_segment_buffer 1
		.amdhsa_user_sgpr_dispatch_ptr 0
		.amdhsa_user_sgpr_queue_ptr 0
		.amdhsa_user_sgpr_kernarg_segment_ptr 1
		.amdhsa_user_sgpr_dispatch_id 0
		.amdhsa_user_sgpr_flat_scratch_init 0
		.amdhsa_user_sgpr_private_segment_size 0
		.amdhsa_wavefront_size32 1
		.amdhsa_uses_dynamic_stack 0
		.amdhsa_system_sgpr_private_segment_wavefront_offset 0
		.amdhsa_system_sgpr_workgroup_id_x 1
		.amdhsa_system_sgpr_workgroup_id_y 0
		.amdhsa_system_sgpr_workgroup_id_z 0
		.amdhsa_system_sgpr_workgroup_info 0
		.amdhsa_system_vgpr_workitem_id 0
		.amdhsa_next_free_vgpr 23
		.amdhsa_next_free_sgpr 37
		.amdhsa_reserve_vcc 1
		.amdhsa_reserve_flat_scratch 0
		.amdhsa_float_round_mode_32 0
		.amdhsa_float_round_mode_16_64 0
		.amdhsa_float_denorm_mode_32 3
		.amdhsa_float_denorm_mode_16_64 3
		.amdhsa_dx10_clamp 1
		.amdhsa_ieee_mode 1
		.amdhsa_fp16_overflow 0
		.amdhsa_workgroup_processor_mode 1
		.amdhsa_memory_ordered 1
		.amdhsa_forward_progress 1
		.amdhsa_shared_vgpr_count 0
		.amdhsa_exception_fp_ieee_invalid_op 0
		.amdhsa_exception_fp_denorm_src 0
		.amdhsa_exception_fp_ieee_div_zero 0
		.amdhsa_exception_fp_ieee_overflow 0
		.amdhsa_exception_fp_ieee_underflow 0
		.amdhsa_exception_fp_ieee_inexact 0
		.amdhsa_exception_int_div_zero 0
	.end_amdhsa_kernel
	.section	.text._ZN9rocsparseL22bsrxmvn_general_kernelILj256ELj16Efll18rocsparse_bfloat16S1_fEEv20rocsparse_direction_NS_24const_host_device_scalarIT1_EET3_PKS6_PKT2_SB_S8_PKT4_S6_PKT5_S5_PT6_21rocsparse_index_base_b,"axG",@progbits,_ZN9rocsparseL22bsrxmvn_general_kernelILj256ELj16Efll18rocsparse_bfloat16S1_fEEv20rocsparse_direction_NS_24const_host_device_scalarIT1_EET3_PKS6_PKT2_SB_S8_PKT4_S6_PKT5_S5_PT6_21rocsparse_index_base_b,comdat
.Lfunc_end70:
	.size	_ZN9rocsparseL22bsrxmvn_general_kernelILj256ELj16Efll18rocsparse_bfloat16S1_fEEv20rocsparse_direction_NS_24const_host_device_scalarIT1_EET3_PKS6_PKT2_SB_S8_PKT4_S6_PKT5_S5_PT6_21rocsparse_index_base_b, .Lfunc_end70-_ZN9rocsparseL22bsrxmvn_general_kernelILj256ELj16Efll18rocsparse_bfloat16S1_fEEv20rocsparse_direction_NS_24const_host_device_scalarIT1_EET3_PKS6_PKT2_SB_S8_PKT4_S6_PKT5_S5_PT6_21rocsparse_index_base_b
                                        ; -- End function
	.set _ZN9rocsparseL22bsrxmvn_general_kernelILj256ELj16Efll18rocsparse_bfloat16S1_fEEv20rocsparse_direction_NS_24const_host_device_scalarIT1_EET3_PKS6_PKT2_SB_S8_PKT4_S6_PKT5_S5_PT6_21rocsparse_index_base_b.num_vgpr, 23
	.set _ZN9rocsparseL22bsrxmvn_general_kernelILj256ELj16Efll18rocsparse_bfloat16S1_fEEv20rocsparse_direction_NS_24const_host_device_scalarIT1_EET3_PKS6_PKT2_SB_S8_PKT4_S6_PKT5_S5_PT6_21rocsparse_index_base_b.num_agpr, 0
	.set _ZN9rocsparseL22bsrxmvn_general_kernelILj256ELj16Efll18rocsparse_bfloat16S1_fEEv20rocsparse_direction_NS_24const_host_device_scalarIT1_EET3_PKS6_PKT2_SB_S8_PKT4_S6_PKT5_S5_PT6_21rocsparse_index_base_b.numbered_sgpr, 37
	.set _ZN9rocsparseL22bsrxmvn_general_kernelILj256ELj16Efll18rocsparse_bfloat16S1_fEEv20rocsparse_direction_NS_24const_host_device_scalarIT1_EET3_PKS6_PKT2_SB_S8_PKT4_S6_PKT5_S5_PT6_21rocsparse_index_base_b.num_named_barrier, 0
	.set _ZN9rocsparseL22bsrxmvn_general_kernelILj256ELj16Efll18rocsparse_bfloat16S1_fEEv20rocsparse_direction_NS_24const_host_device_scalarIT1_EET3_PKS6_PKT2_SB_S8_PKT4_S6_PKT5_S5_PT6_21rocsparse_index_base_b.private_seg_size, 0
	.set _ZN9rocsparseL22bsrxmvn_general_kernelILj256ELj16Efll18rocsparse_bfloat16S1_fEEv20rocsparse_direction_NS_24const_host_device_scalarIT1_EET3_PKS6_PKT2_SB_S8_PKT4_S6_PKT5_S5_PT6_21rocsparse_index_base_b.uses_vcc, 1
	.set _ZN9rocsparseL22bsrxmvn_general_kernelILj256ELj16Efll18rocsparse_bfloat16S1_fEEv20rocsparse_direction_NS_24const_host_device_scalarIT1_EET3_PKS6_PKT2_SB_S8_PKT4_S6_PKT5_S5_PT6_21rocsparse_index_base_b.uses_flat_scratch, 0
	.set _ZN9rocsparseL22bsrxmvn_general_kernelILj256ELj16Efll18rocsparse_bfloat16S1_fEEv20rocsparse_direction_NS_24const_host_device_scalarIT1_EET3_PKS6_PKT2_SB_S8_PKT4_S6_PKT5_S5_PT6_21rocsparse_index_base_b.has_dyn_sized_stack, 0
	.set _ZN9rocsparseL22bsrxmvn_general_kernelILj256ELj16Efll18rocsparse_bfloat16S1_fEEv20rocsparse_direction_NS_24const_host_device_scalarIT1_EET3_PKS6_PKT2_SB_S8_PKT4_S6_PKT5_S5_PT6_21rocsparse_index_base_b.has_recursion, 0
	.set _ZN9rocsparseL22bsrxmvn_general_kernelILj256ELj16Efll18rocsparse_bfloat16S1_fEEv20rocsparse_direction_NS_24const_host_device_scalarIT1_EET3_PKS6_PKT2_SB_S8_PKT4_S6_PKT5_S5_PT6_21rocsparse_index_base_b.has_indirect_call, 0
	.section	.AMDGPU.csdata,"",@progbits
; Kernel info:
; codeLenInByte = 1192
; TotalNumSgprs: 39
; NumVgprs: 23
; ScratchSize: 0
; MemoryBound: 0
; FloatMode: 240
; IeeeMode: 1
; LDSByteSize: 0 bytes/workgroup (compile time only)
; SGPRBlocks: 0
; VGPRBlocks: 2
; NumSGPRsForWavesPerEU: 39
; NumVGPRsForWavesPerEU: 23
; Occupancy: 16
; WaveLimiterHint : 0
; COMPUTE_PGM_RSRC2:SCRATCH_EN: 0
; COMPUTE_PGM_RSRC2:USER_SGPR: 6
; COMPUTE_PGM_RSRC2:TRAP_HANDLER: 0
; COMPUTE_PGM_RSRC2:TGID_X_EN: 1
; COMPUTE_PGM_RSRC2:TGID_Y_EN: 0
; COMPUTE_PGM_RSRC2:TGID_Z_EN: 0
; COMPUTE_PGM_RSRC2:TIDIG_COMP_CNT: 0
	.section	.text._ZN9rocsparseL22bsrxmvn_general_kernelILj1024ELj32Efll18rocsparse_bfloat16S1_fEEv20rocsparse_direction_NS_24const_host_device_scalarIT1_EET3_PKS6_PKT2_SB_S8_PKT4_S6_PKT5_S5_PT6_21rocsparse_index_base_b,"axG",@progbits,_ZN9rocsparseL22bsrxmvn_general_kernelILj1024ELj32Efll18rocsparse_bfloat16S1_fEEv20rocsparse_direction_NS_24const_host_device_scalarIT1_EET3_PKS6_PKT2_SB_S8_PKT4_S6_PKT5_S5_PT6_21rocsparse_index_base_b,comdat
	.globl	_ZN9rocsparseL22bsrxmvn_general_kernelILj1024ELj32Efll18rocsparse_bfloat16S1_fEEv20rocsparse_direction_NS_24const_host_device_scalarIT1_EET3_PKS6_PKT2_SB_S8_PKT4_S6_PKT5_S5_PT6_21rocsparse_index_base_b ; -- Begin function _ZN9rocsparseL22bsrxmvn_general_kernelILj1024ELj32Efll18rocsparse_bfloat16S1_fEEv20rocsparse_direction_NS_24const_host_device_scalarIT1_EET3_PKS6_PKT2_SB_S8_PKT4_S6_PKT5_S5_PT6_21rocsparse_index_base_b
	.p2align	8
	.type	_ZN9rocsparseL22bsrxmvn_general_kernelILj1024ELj32Efll18rocsparse_bfloat16S1_fEEv20rocsparse_direction_NS_24const_host_device_scalarIT1_EET3_PKS6_PKT2_SB_S8_PKT4_S6_PKT5_S5_PT6_21rocsparse_index_base_b,@function
_ZN9rocsparseL22bsrxmvn_general_kernelILj1024ELj32Efll18rocsparse_bfloat16S1_fEEv20rocsparse_direction_NS_24const_host_device_scalarIT1_EET3_PKS6_PKT2_SB_S8_PKT4_S6_PKT5_S5_PT6_21rocsparse_index_base_b: ; @_ZN9rocsparseL22bsrxmvn_general_kernelILj1024ELj32Efll18rocsparse_bfloat16S1_fEEv20rocsparse_direction_NS_24const_host_device_scalarIT1_EET3_PKS6_PKT2_SB_S8_PKT4_S6_PKT5_S5_PT6_21rocsparse_index_base_b
; %bb.0:
	s_clause 0x2
	s_load_dwordx2 s[16:17], s[4:5], 0x60
	s_load_dwordx2 s[18:19], s[4:5], 0x8
	;; [unrolled: 1-line block ×3, first 2 shown]
	s_waitcnt lgkmcnt(0)
	s_bitcmp1_b32 s17, 0
	s_cselect_b32 s0, -1, 0
	s_and_b32 vcc_lo, exec_lo, s0
	s_xor_b32 s0, s0, -1
	s_cbranch_vccnz .LBB71_2
; %bb.1:
	s_load_dword s18, s[18:19], 0x0
.LBB71_2:
	s_andn2_b32 vcc_lo, exec_lo, s0
	s_cbranch_vccnz .LBB71_4
; %bb.3:
	s_load_dword s20, s[20:21], 0x0
.LBB71_4:
	s_waitcnt lgkmcnt(0)
	v_cmp_neq_f32_e64 s0, s18, 0
	v_cmp_neq_f32_e64 s1, s20, 1.0
	s_mov_b32 s7, 0
	s_or_b32 s0, s0, s1
	s_andn2_b32 vcc_lo, exec_lo, s0
	s_cbranch_vccnz .LBB71_26
; %bb.5:
	s_load_dwordx2 s[0:1], s[4:5], 0x18
	s_waitcnt lgkmcnt(0)
	s_cmp_eq_u64 s[0:1], 0
	s_cbranch_scc1 .LBB71_7
; %bb.6:
	s_lshl_b64 s[2:3], s[6:7], 3
	s_add_u32 s0, s0, s2
	s_addc_u32 s1, s1, s3
	s_load_dwordx2 s[0:1], s[0:1], 0x0
	s_waitcnt lgkmcnt(0)
	s_sub_u32 s6, s0, s16
	s_subb_u32 s7, s1, 0
.LBB71_7:
	s_load_dwordx2 s[22:23], s[4:5], 0x40
	v_lshrrev_b32_e32 v1, 5, v0
	v_mov_b32_e32 v2, 0
	s_mov_b32 s0, exec_lo
	s_waitcnt lgkmcnt(0)
	v_cmpx_gt_i64_e64 s[22:23], v[1:2]
	s_cbranch_execz .LBB71_26
; %bb.8:
	s_load_dwordx8 s[8:15], s[4:5], 0x20
	s_lshl_b64 s[26:27], s[6:7], 3
	s_clause 0x1
	s_load_dwordx2 s[2:3], s[4:5], 0x58
	s_load_dwordx2 s[24:25], s[4:5], 0x48
	v_and_b32_e32 v3, 31, v0
	v_mbcnt_lo_u32_b32 v0, -1, 0
	s_load_dword s21, s[4:5], 0x0
	s_mul_i32 s31, s6, s23
	s_mul_hi_u32 s33, s6, s22
	s_mul_i32 s30, s6, s22
	v_xor_b32_e32 v5, 16, v0
	v_xor_b32_e32 v6, 8, v0
	s_mul_i32 s34, s7, s22
	v_xor_b32_e32 v7, 4, v0
	v_xor_b32_e32 v8, 2, v0
	v_cmp_gt_i32_e32 vcc_lo, 32, v5
	v_xor_b32_e32 v9, 1, v0
	v_lshlrev_b32_e32 v10, 1, v3
	v_mov_b32_e32 v4, v2
	s_mul_i32 s35, s22, s23
	v_cndmask_b32_e32 v11, v0, v5, vcc_lo
	s_waitcnt lgkmcnt(0)
	s_add_u32 s28, s8, s26
	s_addc_u32 s29, s9, s27
	v_cmp_gt_i32_e32 vcc_lo, 32, v6
	s_load_dwordx2 s[8:9], s[28:29], 0x0
	s_mul_hi_u32 s36, s22, s22
	v_cmp_gt_u64_e64 s0, s[22:23], v[3:4]
	v_cmp_eq_f32_e64 s19, s20, 0
	v_cndmask_b32_e32 v12, v0, v6, vcc_lo
	v_cmp_gt_i32_e32 vcc_lo, 32, v7
	v_cmp_eq_u32_e64 s1, 31, v3
	s_mov_b32 s17, 0
	v_lshlrev_b32_e32 v17, 2, v12
	v_cndmask_b32_e32 v7, v0, v7, vcc_lo
	v_cmp_gt_i32_e32 vcc_lo, 32, v8
	v_lshlrev_b32_e32 v18, 2, v7
	v_cndmask_b32_e32 v8, v0, v8, vcc_lo
	v_cmp_gt_i32_e32 vcc_lo, 32, v9
	s_waitcnt lgkmcnt(0)
	s_sub_u32 s4, s8, s16
	s_subb_u32 s5, s9, 0
	s_add_u32 s6, s28, 8
	s_addc_u32 s7, s29, 0
	s_add_u32 s26, s10, s26
	s_addc_u32 s27, s11, s27
	s_cmp_eq_u64 s[10:11], 0
	v_mad_u64_u32 v[5:6], null, s22, s4, v[1:2]
	s_cselect_b32 s7, s7, s27
	s_cselect_b32 s6, s6, s26
	v_cndmask_b32_e32 v9, v0, v9, vcc_lo
	s_load_dwordx2 s[10:11], s[6:7], 0x0
	s_mul_i32 s6, s23, s4
	s_mul_i32 s7, s22, s5
	v_lshlrev_b32_e32 v0, 2, v11
	v_add3_u32 v7, s7, s6, v6
	v_lshlrev_b32_e32 v20, 2, v9
	v_mul_lo_u32 v9, s23, v5
	v_mad_u64_u32 v[5:6], null, s22, v5, 0
	v_mul_lo_u32 v11, s22, v7
	v_add_co_u32 v7, s24, s24, v10
	v_lshlrev_b32_e32 v19, 2, v8
	v_add_co_ci_u32_e64 v8, null, s25, 0, s24
	s_mul_i32 s29, s22, s22
	v_add3_u32 v6, v6, v11, v9
	s_waitcnt lgkmcnt(0)
	s_sub_u32 s6, s10, s16
	s_subb_u32 s7, s11, 0
	s_cmp_lg_u32 s21, 0
	s_cselect_b32 s21, -1, 0
	s_add_i32 s26, s33, s31
	s_add_i32 s31, s26, s34
	v_cmp_lt_i64_e64 s26, s[8:9], s[10:11]
	s_lshl_b64 s[24:25], s[30:31], 2
	s_add_u32 s27, s2, s24
	s_addc_u32 s3, s3, s25
	s_add_i32 s2, s36, s35
	s_lshl_b64 s[8:9], s[22:23], 1
	s_lshl_b64 s[10:11], s[22:23], 5
	s_add_i32 s28, s2, s35
	s_branch .LBB71_10
.LBB71_9:                               ;   in Loop: Header=BB71_10 Depth=1
	s_or_b32 exec_lo, exec_lo, s2
	v_add_co_u32 v1, vcc_lo, v1, 32
	v_add_co_ci_u32_e64 v2, null, 0, v2, vcc_lo
	v_add_co_u32 v5, s2, v5, s10
	v_add_co_ci_u32_e64 v6, null, s11, v6, s2
	v_cmp_le_i64_e32 vcc_lo, s[22:23], v[1:2]
	s_or_b32 s17, vcc_lo, s17
	s_andn2_b32 exec_lo, exec_lo, s17
	s_cbranch_execz .LBB71_26
.LBB71_10:                              ; =>This Loop Header: Depth=1
                                        ;     Child Loop BB71_14 Depth 2
                                        ;       Child Loop BB71_17 Depth 3
	v_mov_b32_e32 v21, 0
	s_andn2_b32 vcc_lo, exec_lo, s26
	s_cbranch_vccnz .LBB71_21
; %bb.11:                               ;   in Loop: Header=BB71_10 Depth=1
	s_waitcnt lgkmcnt(0)
	v_mov_b32_e32 v10, v6
	v_mov_b32_e32 v21, 0
	;; [unrolled: 1-line block ×3, first 2 shown]
	s_mov_b64 s[24:25], s[4:5]
	s_branch .LBB71_14
.LBB71_12:                              ;   in Loop: Header=BB71_14 Depth=2
	s_or_b32 exec_lo, exec_lo, s33
.LBB71_13:                              ;   in Loop: Header=BB71_14 Depth=2
	s_or_b32 exec_lo, exec_lo, s30
	s_add_u32 s24, s24, 1
	s_addc_u32 s25, s25, 0
	v_add_co_u32 v9, vcc_lo, v9, s29
	v_cmp_ge_i64_e64 s2, s[24:25], s[6:7]
	v_add_co_ci_u32_e64 v10, null, s28, v10, vcc_lo
	s_and_b32 vcc_lo, exec_lo, s2
	s_cbranch_vccnz .LBB71_21
.LBB71_14:                              ;   Parent Loop BB71_10 Depth=1
                                        ; =>  This Loop Header: Depth=2
                                        ;       Child Loop BB71_17 Depth 3
	s_and_saveexec_b32 s30, s0
	s_cbranch_execz .LBB71_13
; %bb.15:                               ;   in Loop: Header=BB71_14 Depth=2
	s_lshl_b64 s[34:35], s[24:25], 3
	s_mul_i32 s31, s24, s23
	s_add_u32 s34, s12, s34
	s_addc_u32 s35, s13, s35
	s_mul_hi_u32 s33, s24, s22
	s_load_dwordx2 s[34:35], s[34:35], 0x0
	v_mov_b32_e32 v14, v4
	v_mov_b32_e32 v13, v3
	s_waitcnt lgkmcnt(0)
	s_sub_u32 s2, s34, s16
	s_subb_u32 s35, s35, 0
	v_mad_u64_u32 v[11:12], null, s8, s2, v[7:8]
	s_mul_i32 s2, s9, s2
	s_mul_i32 s35, s8, s35
	;; [unrolled: 1-line block ×3, first 2 shown]
	s_add_i32 s31, s33, s31
	s_mov_b32 s33, 0
	s_add_i32 s31, s31, s34
	v_add3_u32 v12, s35, s2, v12
	s_mul_i32 s34, s24, s22
	s_branch .LBB71_17
.LBB71_16:                              ;   in Loop: Header=BB71_17 Depth=3
	v_lshlrev_b64 v[15:16], 1, v[15:16]
	v_add_co_u32 v15, vcc_lo, s14, v15
	v_add_co_ci_u32_e64 v16, null, s15, v16, vcc_lo
	v_add_co_u32 v13, vcc_lo, v13, 32
	global_load_ushort v22, v[11:12], off
	global_load_ushort v15, v[15:16], off
	v_add_co_ci_u32_e64 v14, null, 0, v14, vcc_lo
	v_add_co_u32 v11, s2, v11, 64
	v_add_co_ci_u32_e64 v12, null, 0, v12, s2
	v_cmp_le_i64_e32 vcc_lo, s[22:23], v[13:14]
	s_or_b32 s33, vcc_lo, s33
	s_waitcnt vmcnt(1)
	v_lshlrev_b32_e32 v16, 16, v22
	s_waitcnt vmcnt(0)
	v_lshlrev_b32_e32 v15, 16, v15
	v_fmac_f32_e32 v21, v15, v16
	s_andn2_b32 exec_lo, exec_lo, s33
	s_cbranch_execz .LBB71_12
.LBB71_17:                              ;   Parent Loop BB71_10 Depth=1
                                        ;     Parent Loop BB71_14 Depth=2
                                        ; =>    This Inner Loop Header: Depth=3
	s_and_b32 vcc_lo, exec_lo, s21
	s_cbranch_vccz .LBB71_19
; %bb.18:                               ;   in Loop: Header=BB71_17 Depth=3
	v_add_co_u32 v15, vcc_lo, v13, s34
	v_add_co_ci_u32_e64 v16, null, s31, v14, vcc_lo
	v_mul_lo_u32 v22, v15, s23
	v_mul_lo_u32 v23, v16, s22
	v_mad_u64_u32 v[15:16], null, v15, s22, v[1:2]
	v_add3_u32 v16, v23, v16, v22
	s_cbranch_execnz .LBB71_16
	s_branch .LBB71_20
.LBB71_19:                              ;   in Loop: Header=BB71_17 Depth=3
                                        ; implicit-def: $vgpr15_vgpr16
.LBB71_20:                              ;   in Loop: Header=BB71_17 Depth=3
	v_add_co_u32 v15, vcc_lo, v9, v13
	v_add_co_ci_u32_e64 v16, null, v10, v14, vcc_lo
	s_branch .LBB71_16
.LBB71_21:                              ;   in Loop: Header=BB71_10 Depth=1
	ds_bpermute_b32 v9, v0, v21
	s_waitcnt lgkmcnt(0)
	v_add_f32_e32 v9, v21, v9
	ds_bpermute_b32 v10, v17, v9
	s_waitcnt lgkmcnt(0)
	v_add_f32_e32 v9, v9, v10
	;; [unrolled: 3-line block ×4, first 2 shown]
	ds_bpermute_b32 v10, v20, v9
	s_and_saveexec_b32 s2, s1
	s_cbranch_execz .LBB71_9
; %bb.22:                               ;   in Loop: Header=BB71_10 Depth=1
	s_waitcnt lgkmcnt(0)
	v_add_f32_e32 v11, v9, v10
	v_lshlrev_b64 v[9:10], 2, v[1:2]
	s_and_b32 vcc_lo, exec_lo, s19
	v_mul_f32_e32 v11, s18, v11
	s_cbranch_vccz .LBB71_24
; %bb.23:                               ;   in Loop: Header=BB71_10 Depth=1
	v_add_co_u32 v12, vcc_lo, s27, v9
	v_add_co_ci_u32_e64 v13, null, s3, v10, vcc_lo
	global_store_dword v[12:13], v11, off
	s_cbranch_execnz .LBB71_9
	s_branch .LBB71_25
.LBB71_24:                              ;   in Loop: Header=BB71_10 Depth=1
.LBB71_25:                              ;   in Loop: Header=BB71_10 Depth=1
	v_add_co_u32 v9, vcc_lo, s27, v9
	v_add_co_ci_u32_e64 v10, null, s3, v10, vcc_lo
	global_load_dword v12, v[9:10], off
	s_waitcnt vmcnt(0)
	v_fmac_f32_e32 v11, s20, v12
	global_store_dword v[9:10], v11, off
	s_branch .LBB71_9
.LBB71_26:
	s_endpgm
	.section	.rodata,"a",@progbits
	.p2align	6, 0x0
	.amdhsa_kernel _ZN9rocsparseL22bsrxmvn_general_kernelILj1024ELj32Efll18rocsparse_bfloat16S1_fEEv20rocsparse_direction_NS_24const_host_device_scalarIT1_EET3_PKS6_PKT2_SB_S8_PKT4_S6_PKT5_S5_PT6_21rocsparse_index_base_b
		.amdhsa_group_segment_fixed_size 0
		.amdhsa_private_segment_fixed_size 0
		.amdhsa_kernarg_size 104
		.amdhsa_user_sgpr_count 6
		.amdhsa_user_sgpr_private_segment_buffer 1
		.amdhsa_user_sgpr_dispatch_ptr 0
		.amdhsa_user_sgpr_queue_ptr 0
		.amdhsa_user_sgpr_kernarg_segment_ptr 1
		.amdhsa_user_sgpr_dispatch_id 0
		.amdhsa_user_sgpr_flat_scratch_init 0
		.amdhsa_user_sgpr_private_segment_size 0
		.amdhsa_wavefront_size32 1
		.amdhsa_uses_dynamic_stack 0
		.amdhsa_system_sgpr_private_segment_wavefront_offset 0
		.amdhsa_system_sgpr_workgroup_id_x 1
		.amdhsa_system_sgpr_workgroup_id_y 0
		.amdhsa_system_sgpr_workgroup_id_z 0
		.amdhsa_system_sgpr_workgroup_info 0
		.amdhsa_system_vgpr_workitem_id 0
		.amdhsa_next_free_vgpr 24
		.amdhsa_next_free_sgpr 37
		.amdhsa_reserve_vcc 1
		.amdhsa_reserve_flat_scratch 0
		.amdhsa_float_round_mode_32 0
		.amdhsa_float_round_mode_16_64 0
		.amdhsa_float_denorm_mode_32 3
		.amdhsa_float_denorm_mode_16_64 3
		.amdhsa_dx10_clamp 1
		.amdhsa_ieee_mode 1
		.amdhsa_fp16_overflow 0
		.amdhsa_workgroup_processor_mode 1
		.amdhsa_memory_ordered 1
		.amdhsa_forward_progress 1
		.amdhsa_shared_vgpr_count 0
		.amdhsa_exception_fp_ieee_invalid_op 0
		.amdhsa_exception_fp_denorm_src 0
		.amdhsa_exception_fp_ieee_div_zero 0
		.amdhsa_exception_fp_ieee_overflow 0
		.amdhsa_exception_fp_ieee_underflow 0
		.amdhsa_exception_fp_ieee_inexact 0
		.amdhsa_exception_int_div_zero 0
	.end_amdhsa_kernel
	.section	.text._ZN9rocsparseL22bsrxmvn_general_kernelILj1024ELj32Efll18rocsparse_bfloat16S1_fEEv20rocsparse_direction_NS_24const_host_device_scalarIT1_EET3_PKS6_PKT2_SB_S8_PKT4_S6_PKT5_S5_PT6_21rocsparse_index_base_b,"axG",@progbits,_ZN9rocsparseL22bsrxmvn_general_kernelILj1024ELj32Efll18rocsparse_bfloat16S1_fEEv20rocsparse_direction_NS_24const_host_device_scalarIT1_EET3_PKS6_PKT2_SB_S8_PKT4_S6_PKT5_S5_PT6_21rocsparse_index_base_b,comdat
.Lfunc_end71:
	.size	_ZN9rocsparseL22bsrxmvn_general_kernelILj1024ELj32Efll18rocsparse_bfloat16S1_fEEv20rocsparse_direction_NS_24const_host_device_scalarIT1_EET3_PKS6_PKT2_SB_S8_PKT4_S6_PKT5_S5_PT6_21rocsparse_index_base_b, .Lfunc_end71-_ZN9rocsparseL22bsrxmvn_general_kernelILj1024ELj32Efll18rocsparse_bfloat16S1_fEEv20rocsparse_direction_NS_24const_host_device_scalarIT1_EET3_PKS6_PKT2_SB_S8_PKT4_S6_PKT5_S5_PT6_21rocsparse_index_base_b
                                        ; -- End function
	.set _ZN9rocsparseL22bsrxmvn_general_kernelILj1024ELj32Efll18rocsparse_bfloat16S1_fEEv20rocsparse_direction_NS_24const_host_device_scalarIT1_EET3_PKS6_PKT2_SB_S8_PKT4_S6_PKT5_S5_PT6_21rocsparse_index_base_b.num_vgpr, 24
	.set _ZN9rocsparseL22bsrxmvn_general_kernelILj1024ELj32Efll18rocsparse_bfloat16S1_fEEv20rocsparse_direction_NS_24const_host_device_scalarIT1_EET3_PKS6_PKT2_SB_S8_PKT4_S6_PKT5_S5_PT6_21rocsparse_index_base_b.num_agpr, 0
	.set _ZN9rocsparseL22bsrxmvn_general_kernelILj1024ELj32Efll18rocsparse_bfloat16S1_fEEv20rocsparse_direction_NS_24const_host_device_scalarIT1_EET3_PKS6_PKT2_SB_S8_PKT4_S6_PKT5_S5_PT6_21rocsparse_index_base_b.numbered_sgpr, 37
	.set _ZN9rocsparseL22bsrxmvn_general_kernelILj1024ELj32Efll18rocsparse_bfloat16S1_fEEv20rocsparse_direction_NS_24const_host_device_scalarIT1_EET3_PKS6_PKT2_SB_S8_PKT4_S6_PKT5_S5_PT6_21rocsparse_index_base_b.num_named_barrier, 0
	.set _ZN9rocsparseL22bsrxmvn_general_kernelILj1024ELj32Efll18rocsparse_bfloat16S1_fEEv20rocsparse_direction_NS_24const_host_device_scalarIT1_EET3_PKS6_PKT2_SB_S8_PKT4_S6_PKT5_S5_PT6_21rocsparse_index_base_b.private_seg_size, 0
	.set _ZN9rocsparseL22bsrxmvn_general_kernelILj1024ELj32Efll18rocsparse_bfloat16S1_fEEv20rocsparse_direction_NS_24const_host_device_scalarIT1_EET3_PKS6_PKT2_SB_S8_PKT4_S6_PKT5_S5_PT6_21rocsparse_index_base_b.uses_vcc, 1
	.set _ZN9rocsparseL22bsrxmvn_general_kernelILj1024ELj32Efll18rocsparse_bfloat16S1_fEEv20rocsparse_direction_NS_24const_host_device_scalarIT1_EET3_PKS6_PKT2_SB_S8_PKT4_S6_PKT5_S5_PT6_21rocsparse_index_base_b.uses_flat_scratch, 0
	.set _ZN9rocsparseL22bsrxmvn_general_kernelILj1024ELj32Efll18rocsparse_bfloat16S1_fEEv20rocsparse_direction_NS_24const_host_device_scalarIT1_EET3_PKS6_PKT2_SB_S8_PKT4_S6_PKT5_S5_PT6_21rocsparse_index_base_b.has_dyn_sized_stack, 0
	.set _ZN9rocsparseL22bsrxmvn_general_kernelILj1024ELj32Efll18rocsparse_bfloat16S1_fEEv20rocsparse_direction_NS_24const_host_device_scalarIT1_EET3_PKS6_PKT2_SB_S8_PKT4_S6_PKT5_S5_PT6_21rocsparse_index_base_b.has_recursion, 0
	.set _ZN9rocsparseL22bsrxmvn_general_kernelILj1024ELj32Efll18rocsparse_bfloat16S1_fEEv20rocsparse_direction_NS_24const_host_device_scalarIT1_EET3_PKS6_PKT2_SB_S8_PKT4_S6_PKT5_S5_PT6_21rocsparse_index_base_b.has_indirect_call, 0
	.section	.AMDGPU.csdata,"",@progbits
; Kernel info:
; codeLenInByte = 1224
; TotalNumSgprs: 39
; NumVgprs: 24
; ScratchSize: 0
; MemoryBound: 0
; FloatMode: 240
; IeeeMode: 1
; LDSByteSize: 0 bytes/workgroup (compile time only)
; SGPRBlocks: 0
; VGPRBlocks: 2
; NumSGPRsForWavesPerEU: 39
; NumVGPRsForWavesPerEU: 24
; Occupancy: 16
; WaveLimiterHint : 0
; COMPUTE_PGM_RSRC2:SCRATCH_EN: 0
; COMPUTE_PGM_RSRC2:USER_SGPR: 6
; COMPUTE_PGM_RSRC2:TRAP_HANDLER: 0
; COMPUTE_PGM_RSRC2:TGID_X_EN: 1
; COMPUTE_PGM_RSRC2:TGID_Y_EN: 0
; COMPUTE_PGM_RSRC2:TGID_Z_EN: 0
; COMPUTE_PGM_RSRC2:TIDIG_COMP_CNT: 0
	.section	.text._ZN9rocsparseL22bsrxmvn_general_kernelILj64ELj8E21rocsparse_complex_numIfEiifS2_S2_EEv20rocsparse_direction_NS_24const_host_device_scalarIT1_EET3_PKS7_PKT2_SC_S9_PKT4_S7_PKT5_S6_PT6_21rocsparse_index_base_b,"axG",@progbits,_ZN9rocsparseL22bsrxmvn_general_kernelILj64ELj8E21rocsparse_complex_numIfEiifS2_S2_EEv20rocsparse_direction_NS_24const_host_device_scalarIT1_EET3_PKS7_PKT2_SC_S9_PKT4_S7_PKT5_S6_PT6_21rocsparse_index_base_b,comdat
	.globl	_ZN9rocsparseL22bsrxmvn_general_kernelILj64ELj8E21rocsparse_complex_numIfEiifS2_S2_EEv20rocsparse_direction_NS_24const_host_device_scalarIT1_EET3_PKS7_PKT2_SC_S9_PKT4_S7_PKT5_S6_PT6_21rocsparse_index_base_b ; -- Begin function _ZN9rocsparseL22bsrxmvn_general_kernelILj64ELj8E21rocsparse_complex_numIfEiifS2_S2_EEv20rocsparse_direction_NS_24const_host_device_scalarIT1_EET3_PKS7_PKT2_SC_S9_PKT4_S7_PKT5_S6_PT6_21rocsparse_index_base_b
	.p2align	8
	.type	_ZN9rocsparseL22bsrxmvn_general_kernelILj64ELj8E21rocsparse_complex_numIfEiifS2_S2_EEv20rocsparse_direction_NS_24const_host_device_scalarIT1_EET3_PKS7_PKT2_SC_S9_PKT4_S7_PKT5_S6_PT6_21rocsparse_index_base_b,@function
_ZN9rocsparseL22bsrxmvn_general_kernelILj64ELj8E21rocsparse_complex_numIfEiifS2_S2_EEv20rocsparse_direction_NS_24const_host_device_scalarIT1_EET3_PKS7_PKT2_SC_S9_PKT4_S7_PKT5_S6_PT6_21rocsparse_index_base_b: ; @_ZN9rocsparseL22bsrxmvn_general_kernelILj64ELj8E21rocsparse_complex_numIfEiifS2_S2_EEv20rocsparse_direction_NS_24const_host_device_scalarIT1_EET3_PKS7_PKT2_SC_S9_PKT4_S7_PKT5_S6_PT6_21rocsparse_index_base_b
; %bb.0:
	s_clause 0x2
	s_load_dwordx2 s[16:17], s[4:5], 0x60
	s_load_dwordx2 s[0:1], s[4:5], 0x8
	;; [unrolled: 1-line block ×3, first 2 shown]
	s_add_u32 s7, s4, 8
	s_addc_u32 s8, s5, 0
	s_add_u32 s9, s4, 0x50
	s_addc_u32 s10, s5, 0
	s_waitcnt lgkmcnt(0)
	s_bitcmp1_b32 s17, 0
	s_cselect_b32 s0, s7, s0
	s_cselect_b32 s1, s8, s1
	v_mov_b32_e32 v1, s0
	v_mov_b32_e32 v2, s1
	s_cselect_b32 s0, s9, s2
	s_cselect_b32 s1, s10, s3
	v_mov_b32_e32 v3, s0
	v_mov_b32_e32 v4, s1
	flat_load_dwordx2 v[1:2], v[1:2]
	flat_load_dwordx2 v[3:4], v[3:4]
	s_waitcnt vmcnt(1) lgkmcnt(1)
	v_cmp_eq_f32_e32 vcc_lo, 0, v1
	v_cmp_eq_f32_e64 s0, 0, v2
	s_and_b32 s2, vcc_lo, s0
	s_mov_b32 s0, -1
	s_and_saveexec_b32 s1, s2
	s_cbranch_execz .LBB72_2
; %bb.1:
	s_waitcnt vmcnt(0) lgkmcnt(0)
	v_cmp_neq_f32_e32 vcc_lo, 1.0, v3
	v_cmp_neq_f32_e64 s0, 0, v4
	s_or_b32 s0, vcc_lo, s0
	s_orn2_b32 s0, s0, exec_lo
.LBB72_2:
	s_or_b32 exec_lo, exec_lo, s1
	s_and_saveexec_b32 s1, s0
	s_cbranch_execz .LBB72_24
; %bb.3:
	s_load_dwordx2 s[0:1], s[4:5], 0x18
	s_waitcnt lgkmcnt(0)
	s_cmp_eq_u64 s[0:1], 0
	s_cbranch_scc1 .LBB72_5
; %bb.4:
	s_ashr_i32 s7, s6, 31
	s_lshl_b64 s[2:3], s[6:7], 2
	s_add_u32 s0, s0, s2
	s_addc_u32 s1, s1, s3
	s_load_dword s0, s[0:1], 0x0
	s_waitcnt lgkmcnt(0)
	s_sub_i32 s6, s0, s16
.LBB72_5:
	s_load_dword s17, s[4:5], 0x40
	v_lshrrev_b32_e32 v5, 3, v0
	s_waitcnt lgkmcnt(0)
	v_cmp_gt_i32_e32 vcc_lo, s17, v5
	s_and_b32 exec_lo, exec_lo, vcc_lo
	s_cbranch_execz .LBB72_24
; %bb.6:
	s_load_dwordx8 s[8:15], s[4:5], 0x20
	s_ashr_i32 s7, s6, 31
	v_mbcnt_lo_u32_b32 v8, -1, 0
	s_lshl_b64 s[0:1], s[6:7], 2
	s_load_dword s24, s[4:5], 0x0
	v_and_b32_e32 v7, 7, v0
	v_mov_b32_e32 v6, 0
	v_xor_b32_e32 v9, 4, v8
	v_xor_b32_e32 v10, 2, v8
	;; [unrolled: 1-line block ×3, first 2 shown]
	s_mul_i32 s7, s17, s17
	v_mul_lo_u32 v0, s17, v5
	v_mul_lo_u32 v15, s17, v7
	s_waitcnt vmcnt(0)
	v_cmp_eq_f32_e32 vcc_lo, 0, v3
	v_cmp_eq_f32_e64 s2, 0, v4
	s_mul_i32 s6, s6, s17
	s_waitcnt lgkmcnt(0)
	s_add_u32 s22, s8, s0
	s_addc_u32 s23, s9, s1
	s_load_dword s21, s[22:23], 0x0
	s_clause 0x1
	s_load_dwordx2 s[8:9], s[4:5], 0x58
	s_load_dwordx2 s[18:19], s[4:5], 0x48
	s_mul_hi_u32 s5, s17, s17
	s_mov_b32 s4, 0
	s_waitcnt lgkmcnt(0)
	s_sub_i32 s20, s21, s16
	s_add_u32 s3, s22, 4
	s_addc_u32 s22, s23, 0
	s_add_u32 s0, s10, s0
	s_addc_u32 s1, s11, s1
	s_cmp_eq_u64 s[10:11], 0
	s_mul_hi_u32 s23, s20, s7
	s_cselect_b32 s1, s22, s1
	s_cselect_b32 s0, s3, s0
	v_cmp_gt_i32_e64 s3, 32, v9
	s_load_dword s11, s[0:1], 0x0
	v_cmp_gt_u32_e64 s0, s17, v7
	v_cmp_eq_u32_e64 s1, 7, v7
	v_cndmask_b32_e64 v9, v8, v9, s3
	v_cmp_gt_i32_e64 s3, 32, v10
	v_lshlrev_b32_e32 v16, 2, v9
	v_cndmask_b32_e64 v10, v8, v10, s3
	v_cmp_gt_i32_e64 s3, 32, v11
	v_lshlrev_b32_e32 v17, 2, v10
	v_cndmask_b32_e64 v11, v8, v11, s3
	s_mul_i32 s3, s20, s5
	v_mov_b32_e32 v8, v6
	s_waitcnt lgkmcnt(0)
	s_sub_i32 s10, s11, s16
	s_cmp_lt_i32 s21, s11
	v_lshlrev_b32_e32 v18, 2, v11
	s_cselect_b32 s21, -1, 0
	s_cmp_lg_u32 s24, 0
	s_mul_i32 s11, s20, s7
	s_cselect_b32 s22, -1, 0
	s_ashr_i32 s24, s20, 31
	s_add_i32 s3, s23, s3
	s_mul_i32 s24, s24, s7
	s_and_b32 s23, vcc_lo, s2
	s_add_i32 s24, s3, s24
	s_lshl_b32 s25, s17, 3
	s_branch .LBB72_8
.LBB72_7:                               ;   in Loop: Header=BB72_8 Depth=1
	s_or_b32 exec_lo, exec_lo, s2
	v_add_nc_u32_e32 v5, 8, v5
	v_add_nc_u32_e32 v0, s25, v0
	v_cmp_le_i32_e32 vcc_lo, s17, v5
	s_or_b32 s4, vcc_lo, s4
	s_andn2_b32 exec_lo, exec_lo, s4
	s_cbranch_execz .LBB72_24
.LBB72_8:                               ; =>This Loop Header: Depth=1
                                        ;     Child Loop BB72_12 Depth 2
                                        ;       Child Loop BB72_15 Depth 3
	v_mov_b32_e32 v19, 0
	v_mov_b32_e32 v20, 0
	s_andn2_b32 vcc_lo, exec_lo, s21
	s_cbranch_vccnz .LBB72_19
; %bb.9:                                ;   in Loop: Header=BB72_8 Depth=1
	v_ashrrev_i32_e32 v9, 31, v0
	v_add_co_u32 v21, vcc_lo, s11, v0
	v_mov_b32_e32 v19, 0
	v_mov_b32_e32 v20, 0
	v_add_co_ci_u32_e64 v22, null, s24, v9, vcc_lo
	s_mov_b32 s2, s20
	s_branch .LBB72_12
.LBB72_10:                              ;   in Loop: Header=BB72_12 Depth=2
	s_or_b32 exec_lo, exec_lo, s3
.LBB72_11:                              ;   in Loop: Header=BB72_12 Depth=2
	s_or_b32 exec_lo, exec_lo, s26
	v_add_co_u32 v21, vcc_lo, v21, s7
	v_add_co_ci_u32_e64 v22, null, s5, v22, vcc_lo
	s_add_i32 s2, s2, 1
	s_cmp_ge_i32 s2, s10
	s_cbranch_scc1 .LBB72_19
.LBB72_12:                              ;   Parent Loop BB72_8 Depth=1
                                        ; =>  This Loop Header: Depth=2
                                        ;       Child Loop BB72_15 Depth 3
	s_and_saveexec_b32 s26, s0
	s_cbranch_execz .LBB72_11
; %bb.13:                               ;   in Loop: Header=BB72_12 Depth=2
	s_ashr_i32 s3, s2, 31
	s_waitcnt lgkmcnt(1)
	v_mad_u64_u32 v[9:10], null, s7, s2, v[5:6]
	s_lshl_b64 s[28:29], s[2:3], 2
	s_mul_i32 s3, s7, s3
	s_add_u32 s28, s12, s28
	s_addc_u32 s29, s13, s29
	s_waitcnt lgkmcnt(0)
	v_mov_b32_e32 v12, v8
	s_load_dword s27, s[28:29], 0x0
	s_mul_i32 s28, s5, s2
	v_mov_b32_e32 v23, v15
	v_mov_b32_e32 v11, v7
	v_add3_u32 v10, s3, s28, v10
	s_waitcnt lgkmcnt(0)
	s_sub_i32 s3, s27, s16
	s_mul_i32 s27, s3, s17
	s_mov_b32 s3, 0
	s_branch .LBB72_15
.LBB72_14:                              ;   in Loop: Header=BB72_15 Depth=3
	v_add_nc_u32_e32 v24, s27, v11
	v_lshlrev_b64 v[13:14], 2, v[13:14]
	v_add_nc_u32_e32 v23, s25, v23
	v_ashrrev_i32_e32 v25, 31, v24
	v_add_co_u32 v13, vcc_lo, s14, v13
	v_add_co_ci_u32_e64 v14, null, s15, v14, vcc_lo
	v_lshlrev_b64 v[24:25], 3, v[24:25]
	v_add_co_u32 v24, vcc_lo, s18, v24
	v_add_co_ci_u32_e64 v25, null, s19, v25, vcc_lo
	v_add_co_u32 v11, vcc_lo, v11, 8
	global_load_dword v26, v[13:14], off
	global_load_dwordx2 v[13:14], v[24:25], off
	v_add_co_ci_u32_e64 v12, null, 0, v12, vcc_lo
	v_cmp_le_i32_e32 vcc_lo, s17, v11
	s_or_b32 s3, vcc_lo, s3
	s_waitcnt vmcnt(0)
	v_fmac_f32_e32 v20, v26, v13
	v_fmac_f32_e32 v19, 0, v13
	;; [unrolled: 1-line block ×4, first 2 shown]
	s_andn2_b32 exec_lo, exec_lo, s3
	s_cbranch_execz .LBB72_10
.LBB72_15:                              ;   Parent Loop BB72_8 Depth=1
                                        ;     Parent Loop BB72_12 Depth=2
                                        ; =>    This Inner Loop Header: Depth=3
	s_and_b32 vcc_lo, exec_lo, s22
	s_cbranch_vccz .LBB72_17
; %bb.16:                               ;   in Loop: Header=BB72_15 Depth=3
	v_ashrrev_i32_e32 v14, 31, v23
	v_add_co_u32 v13, vcc_lo, v9, v23
	v_add_co_ci_u32_e64 v14, null, v10, v14, vcc_lo
	s_cbranch_execnz .LBB72_14
	s_branch .LBB72_18
.LBB72_17:                              ;   in Loop: Header=BB72_15 Depth=3
                                        ; implicit-def: $vgpr13_vgpr14
.LBB72_18:                              ;   in Loop: Header=BB72_15 Depth=3
	v_add_co_u32 v13, vcc_lo, v21, v11
	v_add_co_ci_u32_e64 v14, null, v22, v12, vcc_lo
	s_branch .LBB72_14
.LBB72_19:                              ;   in Loop: Header=BB72_8 Depth=1
	ds_bpermute_b32 v9, v16, v20
	s_waitcnt lgkmcnt(2)
	ds_bpermute_b32 v10, v16, v19
	s_waitcnt lgkmcnt(1)
	v_add_f32_e32 v9, v20, v9
	s_waitcnt lgkmcnt(0)
	v_add_f32_e32 v10, v19, v10
	ds_bpermute_b32 v11, v17, v9
	ds_bpermute_b32 v12, v17, v10
	s_waitcnt lgkmcnt(1)
	v_add_f32_e32 v9, v9, v11
	s_waitcnt lgkmcnt(0)
	v_add_f32_e32 v11, v10, v12
	ds_bpermute_b32 v10, v18, v9
	ds_bpermute_b32 v12, v18, v11
	s_and_saveexec_b32 s2, s1
	s_cbranch_execz .LBB72_7
; %bb.20:                               ;   in Loop: Header=BB72_8 Depth=1
	s_waitcnt lgkmcnt(0)
	v_add_f32_e32 v11, v11, v12
	v_add_f32_e32 v12, v9, v10
	v_mul_f32_e64 v9, v11, -v2
	v_mul_f32_e32 v10, v1, v11
	v_add_nc_u32_e32 v11, s6, v5
	v_fmac_f32_e32 v9, v1, v12
	v_fmac_f32_e32 v10, v2, v12
	v_ashrrev_i32_e32 v12, 31, v11
	s_and_saveexec_b32 s3, s23
	s_xor_b32 s3, exec_lo, s3
	s_cbranch_execz .LBB72_22
; %bb.21:                               ;   in Loop: Header=BB72_8 Depth=1
	v_lshlrev_b64 v[11:12], 3, v[11:12]
	v_add_co_u32 v11, vcc_lo, s8, v11
	v_add_co_ci_u32_e64 v12, null, s9, v12, vcc_lo
	global_store_dwordx2 v[11:12], v[9:10], off
                                        ; implicit-def: $vgpr11
                                        ; implicit-def: $vgpr9
.LBB72_22:                              ;   in Loop: Header=BB72_8 Depth=1
	s_andn2_saveexec_b32 s3, s3
	s_cbranch_execz .LBB72_7
; %bb.23:                               ;   in Loop: Header=BB72_8 Depth=1
	v_lshlrev_b64 v[11:12], 3, v[11:12]
	v_add_co_u32 v11, vcc_lo, s8, v11
	v_add_co_ci_u32_e64 v12, null, s9, v12, vcc_lo
	global_load_dwordx2 v[13:14], v[11:12], off
	s_waitcnt vmcnt(0)
	v_fmac_f32_e32 v9, v3, v13
	v_fmac_f32_e32 v10, v4, v13
	v_fma_f32 v9, -v4, v14, v9
	v_fmac_f32_e32 v10, v3, v14
	global_store_dwordx2 v[11:12], v[9:10], off
	s_branch .LBB72_7
.LBB72_24:
	s_endpgm
	.section	.rodata,"a",@progbits
	.p2align	6, 0x0
	.amdhsa_kernel _ZN9rocsparseL22bsrxmvn_general_kernelILj64ELj8E21rocsparse_complex_numIfEiifS2_S2_EEv20rocsparse_direction_NS_24const_host_device_scalarIT1_EET3_PKS7_PKT2_SC_S9_PKT4_S7_PKT5_S6_PT6_21rocsparse_index_base_b
		.amdhsa_group_segment_fixed_size 0
		.amdhsa_private_segment_fixed_size 0
		.amdhsa_kernarg_size 104
		.amdhsa_user_sgpr_count 6
		.amdhsa_user_sgpr_private_segment_buffer 1
		.amdhsa_user_sgpr_dispatch_ptr 0
		.amdhsa_user_sgpr_queue_ptr 0
		.amdhsa_user_sgpr_kernarg_segment_ptr 1
		.amdhsa_user_sgpr_dispatch_id 0
		.amdhsa_user_sgpr_flat_scratch_init 0
		.amdhsa_user_sgpr_private_segment_size 0
		.amdhsa_wavefront_size32 1
		.amdhsa_uses_dynamic_stack 0
		.amdhsa_system_sgpr_private_segment_wavefront_offset 0
		.amdhsa_system_sgpr_workgroup_id_x 1
		.amdhsa_system_sgpr_workgroup_id_y 0
		.amdhsa_system_sgpr_workgroup_id_z 0
		.amdhsa_system_sgpr_workgroup_info 0
		.amdhsa_system_vgpr_workitem_id 0
		.amdhsa_next_free_vgpr 27
		.amdhsa_next_free_sgpr 30
		.amdhsa_reserve_vcc 1
		.amdhsa_reserve_flat_scratch 0
		.amdhsa_float_round_mode_32 0
		.amdhsa_float_round_mode_16_64 0
		.amdhsa_float_denorm_mode_32 3
		.amdhsa_float_denorm_mode_16_64 3
		.amdhsa_dx10_clamp 1
		.amdhsa_ieee_mode 1
		.amdhsa_fp16_overflow 0
		.amdhsa_workgroup_processor_mode 1
		.amdhsa_memory_ordered 1
		.amdhsa_forward_progress 1
		.amdhsa_shared_vgpr_count 0
		.amdhsa_exception_fp_ieee_invalid_op 0
		.amdhsa_exception_fp_denorm_src 0
		.amdhsa_exception_fp_ieee_div_zero 0
		.amdhsa_exception_fp_ieee_overflow 0
		.amdhsa_exception_fp_ieee_underflow 0
		.amdhsa_exception_fp_ieee_inexact 0
		.amdhsa_exception_int_div_zero 0
	.end_amdhsa_kernel
	.section	.text._ZN9rocsparseL22bsrxmvn_general_kernelILj64ELj8E21rocsparse_complex_numIfEiifS2_S2_EEv20rocsparse_direction_NS_24const_host_device_scalarIT1_EET3_PKS7_PKT2_SC_S9_PKT4_S7_PKT5_S6_PT6_21rocsparse_index_base_b,"axG",@progbits,_ZN9rocsparseL22bsrxmvn_general_kernelILj64ELj8E21rocsparse_complex_numIfEiifS2_S2_EEv20rocsparse_direction_NS_24const_host_device_scalarIT1_EET3_PKS7_PKT2_SC_S9_PKT4_S7_PKT5_S6_PT6_21rocsparse_index_base_b,comdat
.Lfunc_end72:
	.size	_ZN9rocsparseL22bsrxmvn_general_kernelILj64ELj8E21rocsparse_complex_numIfEiifS2_S2_EEv20rocsparse_direction_NS_24const_host_device_scalarIT1_EET3_PKS7_PKT2_SC_S9_PKT4_S7_PKT5_S6_PT6_21rocsparse_index_base_b, .Lfunc_end72-_ZN9rocsparseL22bsrxmvn_general_kernelILj64ELj8E21rocsparse_complex_numIfEiifS2_S2_EEv20rocsparse_direction_NS_24const_host_device_scalarIT1_EET3_PKS7_PKT2_SC_S9_PKT4_S7_PKT5_S6_PT6_21rocsparse_index_base_b
                                        ; -- End function
	.set _ZN9rocsparseL22bsrxmvn_general_kernelILj64ELj8E21rocsparse_complex_numIfEiifS2_S2_EEv20rocsparse_direction_NS_24const_host_device_scalarIT1_EET3_PKS7_PKT2_SC_S9_PKT4_S7_PKT5_S6_PT6_21rocsparse_index_base_b.num_vgpr, 27
	.set _ZN9rocsparseL22bsrxmvn_general_kernelILj64ELj8E21rocsparse_complex_numIfEiifS2_S2_EEv20rocsparse_direction_NS_24const_host_device_scalarIT1_EET3_PKS7_PKT2_SC_S9_PKT4_S7_PKT5_S6_PT6_21rocsparse_index_base_b.num_agpr, 0
	.set _ZN9rocsparseL22bsrxmvn_general_kernelILj64ELj8E21rocsparse_complex_numIfEiifS2_S2_EEv20rocsparse_direction_NS_24const_host_device_scalarIT1_EET3_PKS7_PKT2_SC_S9_PKT4_S7_PKT5_S6_PT6_21rocsparse_index_base_b.numbered_sgpr, 30
	.set _ZN9rocsparseL22bsrxmvn_general_kernelILj64ELj8E21rocsparse_complex_numIfEiifS2_S2_EEv20rocsparse_direction_NS_24const_host_device_scalarIT1_EET3_PKS7_PKT2_SC_S9_PKT4_S7_PKT5_S6_PT6_21rocsparse_index_base_b.num_named_barrier, 0
	.set _ZN9rocsparseL22bsrxmvn_general_kernelILj64ELj8E21rocsparse_complex_numIfEiifS2_S2_EEv20rocsparse_direction_NS_24const_host_device_scalarIT1_EET3_PKS7_PKT2_SC_S9_PKT4_S7_PKT5_S6_PT6_21rocsparse_index_base_b.private_seg_size, 0
	.set _ZN9rocsparseL22bsrxmvn_general_kernelILj64ELj8E21rocsparse_complex_numIfEiifS2_S2_EEv20rocsparse_direction_NS_24const_host_device_scalarIT1_EET3_PKS7_PKT2_SC_S9_PKT4_S7_PKT5_S6_PT6_21rocsparse_index_base_b.uses_vcc, 1
	.set _ZN9rocsparseL22bsrxmvn_general_kernelILj64ELj8E21rocsparse_complex_numIfEiifS2_S2_EEv20rocsparse_direction_NS_24const_host_device_scalarIT1_EET3_PKS7_PKT2_SC_S9_PKT4_S7_PKT5_S6_PT6_21rocsparse_index_base_b.uses_flat_scratch, 0
	.set _ZN9rocsparseL22bsrxmvn_general_kernelILj64ELj8E21rocsparse_complex_numIfEiifS2_S2_EEv20rocsparse_direction_NS_24const_host_device_scalarIT1_EET3_PKS7_PKT2_SC_S9_PKT4_S7_PKT5_S6_PT6_21rocsparse_index_base_b.has_dyn_sized_stack, 0
	.set _ZN9rocsparseL22bsrxmvn_general_kernelILj64ELj8E21rocsparse_complex_numIfEiifS2_S2_EEv20rocsparse_direction_NS_24const_host_device_scalarIT1_EET3_PKS7_PKT2_SC_S9_PKT4_S7_PKT5_S6_PT6_21rocsparse_index_base_b.has_recursion, 0
	.set _ZN9rocsparseL22bsrxmvn_general_kernelILj64ELj8E21rocsparse_complex_numIfEiifS2_S2_EEv20rocsparse_direction_NS_24const_host_device_scalarIT1_EET3_PKS7_PKT2_SC_S9_PKT4_S7_PKT5_S6_PT6_21rocsparse_index_base_b.has_indirect_call, 0
	.section	.AMDGPU.csdata,"",@progbits
; Kernel info:
; codeLenInByte = 1236
; TotalNumSgprs: 32
; NumVgprs: 27
; ScratchSize: 0
; MemoryBound: 0
; FloatMode: 240
; IeeeMode: 1
; LDSByteSize: 0 bytes/workgroup (compile time only)
; SGPRBlocks: 0
; VGPRBlocks: 3
; NumSGPRsForWavesPerEU: 32
; NumVGPRsForWavesPerEU: 27
; Occupancy: 16
; WaveLimiterHint : 1
; COMPUTE_PGM_RSRC2:SCRATCH_EN: 0
; COMPUTE_PGM_RSRC2:USER_SGPR: 6
; COMPUTE_PGM_RSRC2:TRAP_HANDLER: 0
; COMPUTE_PGM_RSRC2:TGID_X_EN: 1
; COMPUTE_PGM_RSRC2:TGID_Y_EN: 0
; COMPUTE_PGM_RSRC2:TGID_Z_EN: 0
; COMPUTE_PGM_RSRC2:TIDIG_COMP_CNT: 0
	.section	.text._ZN9rocsparseL22bsrxmvn_general_kernelILj256ELj16E21rocsparse_complex_numIfEiifS2_S2_EEv20rocsparse_direction_NS_24const_host_device_scalarIT1_EET3_PKS7_PKT2_SC_S9_PKT4_S7_PKT5_S6_PT6_21rocsparse_index_base_b,"axG",@progbits,_ZN9rocsparseL22bsrxmvn_general_kernelILj256ELj16E21rocsparse_complex_numIfEiifS2_S2_EEv20rocsparse_direction_NS_24const_host_device_scalarIT1_EET3_PKS7_PKT2_SC_S9_PKT4_S7_PKT5_S6_PT6_21rocsparse_index_base_b,comdat
	.globl	_ZN9rocsparseL22bsrxmvn_general_kernelILj256ELj16E21rocsparse_complex_numIfEiifS2_S2_EEv20rocsparse_direction_NS_24const_host_device_scalarIT1_EET3_PKS7_PKT2_SC_S9_PKT4_S7_PKT5_S6_PT6_21rocsparse_index_base_b ; -- Begin function _ZN9rocsparseL22bsrxmvn_general_kernelILj256ELj16E21rocsparse_complex_numIfEiifS2_S2_EEv20rocsparse_direction_NS_24const_host_device_scalarIT1_EET3_PKS7_PKT2_SC_S9_PKT4_S7_PKT5_S6_PT6_21rocsparse_index_base_b
	.p2align	8
	.type	_ZN9rocsparseL22bsrxmvn_general_kernelILj256ELj16E21rocsparse_complex_numIfEiifS2_S2_EEv20rocsparse_direction_NS_24const_host_device_scalarIT1_EET3_PKS7_PKT2_SC_S9_PKT4_S7_PKT5_S6_PT6_21rocsparse_index_base_b,@function
_ZN9rocsparseL22bsrxmvn_general_kernelILj256ELj16E21rocsparse_complex_numIfEiifS2_S2_EEv20rocsparse_direction_NS_24const_host_device_scalarIT1_EET3_PKS7_PKT2_SC_S9_PKT4_S7_PKT5_S6_PT6_21rocsparse_index_base_b: ; @_ZN9rocsparseL22bsrxmvn_general_kernelILj256ELj16E21rocsparse_complex_numIfEiifS2_S2_EEv20rocsparse_direction_NS_24const_host_device_scalarIT1_EET3_PKS7_PKT2_SC_S9_PKT4_S7_PKT5_S6_PT6_21rocsparse_index_base_b
; %bb.0:
	s_clause 0x2
	s_load_dwordx2 s[16:17], s[4:5], 0x60
	s_load_dwordx2 s[0:1], s[4:5], 0x8
	;; [unrolled: 1-line block ×3, first 2 shown]
	s_add_u32 s7, s4, 8
	s_addc_u32 s8, s5, 0
	s_add_u32 s9, s4, 0x50
	s_addc_u32 s10, s5, 0
	s_waitcnt lgkmcnt(0)
	s_bitcmp1_b32 s17, 0
	s_cselect_b32 s0, s7, s0
	s_cselect_b32 s1, s8, s1
	v_mov_b32_e32 v1, s0
	v_mov_b32_e32 v2, s1
	s_cselect_b32 s0, s9, s2
	s_cselect_b32 s1, s10, s3
	v_mov_b32_e32 v3, s0
	v_mov_b32_e32 v4, s1
	flat_load_dwordx2 v[1:2], v[1:2]
	flat_load_dwordx2 v[3:4], v[3:4]
	s_waitcnt vmcnt(1) lgkmcnt(1)
	v_cmp_eq_f32_e32 vcc_lo, 0, v1
	v_cmp_eq_f32_e64 s0, 0, v2
	s_and_b32 s2, vcc_lo, s0
	s_mov_b32 s0, -1
	s_and_saveexec_b32 s1, s2
	s_cbranch_execz .LBB73_2
; %bb.1:
	s_waitcnt vmcnt(0) lgkmcnt(0)
	v_cmp_neq_f32_e32 vcc_lo, 1.0, v3
	v_cmp_neq_f32_e64 s0, 0, v4
	s_or_b32 s0, vcc_lo, s0
	s_orn2_b32 s0, s0, exec_lo
.LBB73_2:
	s_or_b32 exec_lo, exec_lo, s1
	s_and_saveexec_b32 s1, s0
	s_cbranch_execz .LBB73_24
; %bb.3:
	s_load_dwordx2 s[0:1], s[4:5], 0x18
	s_waitcnt lgkmcnt(0)
	s_cmp_eq_u64 s[0:1], 0
	s_cbranch_scc1 .LBB73_5
; %bb.4:
	s_ashr_i32 s7, s6, 31
	s_lshl_b64 s[2:3], s[6:7], 2
	s_add_u32 s0, s0, s2
	s_addc_u32 s1, s1, s3
	s_load_dword s0, s[0:1], 0x0
	s_waitcnt lgkmcnt(0)
	s_sub_i32 s6, s0, s16
.LBB73_5:
	s_load_dword s17, s[4:5], 0x40
	v_lshrrev_b32_e32 v5, 4, v0
	s_waitcnt lgkmcnt(0)
	v_cmp_gt_i32_e32 vcc_lo, s17, v5
	s_and_b32 exec_lo, exec_lo, vcc_lo
	s_cbranch_execz .LBB73_24
; %bb.6:
	s_load_dwordx8 s[8:15], s[4:5], 0x20
	s_ashr_i32 s7, s6, 31
	v_mbcnt_lo_u32_b32 v9, -1, 0
	s_lshl_b64 s[22:23], s[6:7], 2
	s_load_dword s26, s[4:5], 0x0
	v_and_b32_e32 v7, 15, v0
	v_mov_b32_e32 v6, 0
	v_xor_b32_e32 v10, 8, v9
	v_xor_b32_e32 v11, 4, v9
	;; [unrolled: 1-line block ×4, first 2 shown]
	s_mul_i32 s7, s17, s17
	v_mul_lo_u32 v0, s17, v5
	v_mul_lo_u32 v15, s17, v7
	s_waitcnt vmcnt(0)
	v_cmp_eq_f32_e32 vcc_lo, 0, v3
	v_cmp_eq_f32_e64 s2, 0, v4
	v_cmp_gt_u32_e64 s0, s17, v7
	v_mov_b32_e32 v8, v6
	s_mul_i32 s6, s6, s17
	s_waitcnt lgkmcnt(0)
	s_add_u32 s24, s8, s22
	s_addc_u32 s25, s9, s23
	s_load_dword s21, s[24:25], 0x0
	s_clause 0x1
	s_load_dwordx2 s[8:9], s[4:5], 0x58
	s_load_dwordx2 s[18:19], s[4:5], 0x48
	s_mul_hi_u32 s5, s17, s17
	s_mov_b32 s4, 0
	s_waitcnt lgkmcnt(0)
	s_sub_i32 s20, s21, s16
	s_add_u32 s1, s24, 4
	s_addc_u32 s3, s25, 0
	s_add_u32 s22, s10, s22
	s_addc_u32 s23, s11, s23
	s_cmp_eq_u64 s[10:11], 0
	s_cselect_b32 s11, s3, s23
	s_cselect_b32 s10, s1, s22
	v_cmp_gt_i32_e64 s3, 32, v10
	s_load_dword s11, s[10:11], 0x0
	s_mul_hi_u32 s23, s20, s7
	v_cmp_eq_u32_e64 s1, 15, v7
	v_cndmask_b32_e64 v10, v9, v10, s3
	v_cmp_gt_i32_e64 s3, 32, v11
	v_lshlrev_b32_e32 v16, 2, v10
	v_cndmask_b32_e64 v11, v9, v11, s3
	v_cmp_gt_i32_e64 s3, 32, v12
	v_lshlrev_b32_e32 v17, 2, v11
	v_cndmask_b32_e64 v12, v9, v12, s3
	v_cmp_gt_i32_e64 s3, 32, v13
	s_waitcnt lgkmcnt(0)
	s_sub_i32 s10, s11, s16
	s_cmp_lt_i32 s21, s11
	v_cndmask_b32_e64 v9, v9, v13, s3
	s_cselect_b32 s21, -1, 0
	s_cmp_lg_u32 s26, 0
	s_mul_i32 s3, s20, s5
	s_cselect_b32 s22, -1, 0
	s_ashr_i32 s24, s20, 31
	v_lshlrev_b32_e32 v18, 2, v12
	v_lshlrev_b32_e32 v19, 2, v9
	s_add_i32 s3, s23, s3
	s_mul_i32 s24, s24, s7
	s_mul_i32 s11, s20, s7
	s_and_b32 s23, vcc_lo, s2
	s_add_i32 s24, s3, s24
	s_lshl_b32 s25, s17, 4
	s_branch .LBB73_8
.LBB73_7:                               ;   in Loop: Header=BB73_8 Depth=1
	s_or_b32 exec_lo, exec_lo, s2
	v_add_nc_u32_e32 v5, 16, v5
	v_add_nc_u32_e32 v0, s25, v0
	v_cmp_le_i32_e32 vcc_lo, s17, v5
	s_or_b32 s4, vcc_lo, s4
	s_andn2_b32 exec_lo, exec_lo, s4
	s_cbranch_execz .LBB73_24
.LBB73_8:                               ; =>This Loop Header: Depth=1
                                        ;     Child Loop BB73_12 Depth 2
                                        ;       Child Loop BB73_15 Depth 3
	v_mov_b32_e32 v20, 0
	v_mov_b32_e32 v21, 0
	s_andn2_b32 vcc_lo, exec_lo, s21
	s_cbranch_vccnz .LBB73_19
; %bb.9:                                ;   in Loop: Header=BB73_8 Depth=1
	v_ashrrev_i32_e32 v9, 31, v0
	v_add_co_u32 v22, vcc_lo, s11, v0
	v_mov_b32_e32 v20, 0
	v_mov_b32_e32 v21, 0
	v_add_co_ci_u32_e64 v23, null, s24, v9, vcc_lo
	s_mov_b32 s2, s20
	s_branch .LBB73_12
.LBB73_10:                              ;   in Loop: Header=BB73_12 Depth=2
	s_or_b32 exec_lo, exec_lo, s3
.LBB73_11:                              ;   in Loop: Header=BB73_12 Depth=2
	s_or_b32 exec_lo, exec_lo, s26
	v_add_co_u32 v22, vcc_lo, v22, s7
	v_add_co_ci_u32_e64 v23, null, s5, v23, vcc_lo
	s_add_i32 s2, s2, 1
	s_cmp_ge_i32 s2, s10
	s_cbranch_scc1 .LBB73_19
.LBB73_12:                              ;   Parent Loop BB73_8 Depth=1
                                        ; =>  This Loop Header: Depth=2
                                        ;       Child Loop BB73_15 Depth 3
	s_and_saveexec_b32 s26, s0
	s_cbranch_execz .LBB73_11
; %bb.13:                               ;   in Loop: Header=BB73_12 Depth=2
	s_ashr_i32 s3, s2, 31
	s_waitcnt lgkmcnt(1)
	v_mad_u64_u32 v[9:10], null, s7, s2, v[5:6]
	s_lshl_b64 s[28:29], s[2:3], 2
	s_mul_i32 s3, s7, s3
	s_add_u32 s28, s12, s28
	s_addc_u32 s29, s13, s29
	s_waitcnt lgkmcnt(0)
	v_mov_b32_e32 v12, v8
	s_load_dword s27, s[28:29], 0x0
	s_mul_i32 s28, s5, s2
	v_mov_b32_e32 v24, v15
	v_mov_b32_e32 v11, v7
	v_add3_u32 v10, s3, s28, v10
	s_waitcnt lgkmcnt(0)
	s_sub_i32 s3, s27, s16
	s_mul_i32 s27, s3, s17
	s_mov_b32 s3, 0
	s_branch .LBB73_15
.LBB73_14:                              ;   in Loop: Header=BB73_15 Depth=3
	v_add_nc_u32_e32 v25, s27, v11
	v_lshlrev_b64 v[13:14], 2, v[13:14]
	v_add_nc_u32_e32 v24, s25, v24
	v_ashrrev_i32_e32 v26, 31, v25
	v_add_co_u32 v13, vcc_lo, s14, v13
	v_add_co_ci_u32_e64 v14, null, s15, v14, vcc_lo
	v_lshlrev_b64 v[25:26], 3, v[25:26]
	v_add_co_u32 v25, vcc_lo, s18, v25
	v_add_co_ci_u32_e64 v26, null, s19, v26, vcc_lo
	v_add_co_u32 v11, vcc_lo, v11, 16
	global_load_dword v27, v[13:14], off
	global_load_dwordx2 v[13:14], v[25:26], off
	v_add_co_ci_u32_e64 v12, null, 0, v12, vcc_lo
	v_cmp_le_i32_e32 vcc_lo, s17, v11
	s_or_b32 s3, vcc_lo, s3
	s_waitcnt vmcnt(0)
	v_fmac_f32_e32 v21, v27, v13
	v_fmac_f32_e32 v20, 0, v13
	;; [unrolled: 1-line block ×4, first 2 shown]
	s_andn2_b32 exec_lo, exec_lo, s3
	s_cbranch_execz .LBB73_10
.LBB73_15:                              ;   Parent Loop BB73_8 Depth=1
                                        ;     Parent Loop BB73_12 Depth=2
                                        ; =>    This Inner Loop Header: Depth=3
	s_and_b32 vcc_lo, exec_lo, s22
	s_cbranch_vccz .LBB73_17
; %bb.16:                               ;   in Loop: Header=BB73_15 Depth=3
	v_ashrrev_i32_e32 v14, 31, v24
	v_add_co_u32 v13, vcc_lo, v9, v24
	v_add_co_ci_u32_e64 v14, null, v10, v14, vcc_lo
	s_cbranch_execnz .LBB73_14
	s_branch .LBB73_18
.LBB73_17:                              ;   in Loop: Header=BB73_15 Depth=3
                                        ; implicit-def: $vgpr13_vgpr14
.LBB73_18:                              ;   in Loop: Header=BB73_15 Depth=3
	v_add_co_u32 v13, vcc_lo, v22, v11
	v_add_co_ci_u32_e64 v14, null, v23, v12, vcc_lo
	s_branch .LBB73_14
.LBB73_19:                              ;   in Loop: Header=BB73_8 Depth=1
	ds_bpermute_b32 v9, v16, v21
	s_waitcnt lgkmcnt(2)
	ds_bpermute_b32 v10, v16, v20
	s_waitcnt lgkmcnt(1)
	v_add_f32_e32 v9, v21, v9
	s_waitcnt lgkmcnt(0)
	v_add_f32_e32 v10, v20, v10
	ds_bpermute_b32 v11, v17, v9
	ds_bpermute_b32 v12, v17, v10
	s_waitcnt lgkmcnt(1)
	v_add_f32_e32 v9, v9, v11
	s_waitcnt lgkmcnt(0)
	v_add_f32_e32 v10, v10, v12
	ds_bpermute_b32 v11, v18, v9
	;; [unrolled: 6-line block ×3, first 2 shown]
	ds_bpermute_b32 v12, v19, v11
	s_and_saveexec_b32 s2, s1
	s_cbranch_execz .LBB73_7
; %bb.20:                               ;   in Loop: Header=BB73_8 Depth=1
	s_waitcnt lgkmcnt(0)
	v_add_f32_e32 v11, v11, v12
	v_add_f32_e32 v12, v9, v10
	v_mul_f32_e64 v9, v11, -v2
	v_mul_f32_e32 v10, v1, v11
	v_add_nc_u32_e32 v11, s6, v5
	v_fmac_f32_e32 v9, v1, v12
	v_fmac_f32_e32 v10, v2, v12
	v_ashrrev_i32_e32 v12, 31, v11
	s_and_saveexec_b32 s3, s23
	s_xor_b32 s3, exec_lo, s3
	s_cbranch_execz .LBB73_22
; %bb.21:                               ;   in Loop: Header=BB73_8 Depth=1
	v_lshlrev_b64 v[11:12], 3, v[11:12]
	v_add_co_u32 v11, vcc_lo, s8, v11
	v_add_co_ci_u32_e64 v12, null, s9, v12, vcc_lo
	global_store_dwordx2 v[11:12], v[9:10], off
                                        ; implicit-def: $vgpr11
                                        ; implicit-def: $vgpr9
.LBB73_22:                              ;   in Loop: Header=BB73_8 Depth=1
	s_andn2_saveexec_b32 s3, s3
	s_cbranch_execz .LBB73_7
; %bb.23:                               ;   in Loop: Header=BB73_8 Depth=1
	v_lshlrev_b64 v[11:12], 3, v[11:12]
	v_add_co_u32 v11, vcc_lo, s8, v11
	v_add_co_ci_u32_e64 v12, null, s9, v12, vcc_lo
	global_load_dwordx2 v[13:14], v[11:12], off
	s_waitcnt vmcnt(0)
	v_fmac_f32_e32 v9, v3, v13
	v_fmac_f32_e32 v10, v4, v13
	v_fma_f32 v9, -v4, v14, v9
	v_fmac_f32_e32 v10, v3, v14
	global_store_dwordx2 v[11:12], v[9:10], off
	s_branch .LBB73_7
.LBB73_24:
	s_endpgm
	.section	.rodata,"a",@progbits
	.p2align	6, 0x0
	.amdhsa_kernel _ZN9rocsparseL22bsrxmvn_general_kernelILj256ELj16E21rocsparse_complex_numIfEiifS2_S2_EEv20rocsparse_direction_NS_24const_host_device_scalarIT1_EET3_PKS7_PKT2_SC_S9_PKT4_S7_PKT5_S6_PT6_21rocsparse_index_base_b
		.amdhsa_group_segment_fixed_size 0
		.amdhsa_private_segment_fixed_size 0
		.amdhsa_kernarg_size 104
		.amdhsa_user_sgpr_count 6
		.amdhsa_user_sgpr_private_segment_buffer 1
		.amdhsa_user_sgpr_dispatch_ptr 0
		.amdhsa_user_sgpr_queue_ptr 0
		.amdhsa_user_sgpr_kernarg_segment_ptr 1
		.amdhsa_user_sgpr_dispatch_id 0
		.amdhsa_user_sgpr_flat_scratch_init 0
		.amdhsa_user_sgpr_private_segment_size 0
		.amdhsa_wavefront_size32 1
		.amdhsa_uses_dynamic_stack 0
		.amdhsa_system_sgpr_private_segment_wavefront_offset 0
		.amdhsa_system_sgpr_workgroup_id_x 1
		.amdhsa_system_sgpr_workgroup_id_y 0
		.amdhsa_system_sgpr_workgroup_id_z 0
		.amdhsa_system_sgpr_workgroup_info 0
		.amdhsa_system_vgpr_workitem_id 0
		.amdhsa_next_free_vgpr 28
		.amdhsa_next_free_sgpr 30
		.amdhsa_reserve_vcc 1
		.amdhsa_reserve_flat_scratch 0
		.amdhsa_float_round_mode_32 0
		.amdhsa_float_round_mode_16_64 0
		.amdhsa_float_denorm_mode_32 3
		.amdhsa_float_denorm_mode_16_64 3
		.amdhsa_dx10_clamp 1
		.amdhsa_ieee_mode 1
		.amdhsa_fp16_overflow 0
		.amdhsa_workgroup_processor_mode 1
		.amdhsa_memory_ordered 1
		.amdhsa_forward_progress 1
		.amdhsa_shared_vgpr_count 0
		.amdhsa_exception_fp_ieee_invalid_op 0
		.amdhsa_exception_fp_denorm_src 0
		.amdhsa_exception_fp_ieee_div_zero 0
		.amdhsa_exception_fp_ieee_overflow 0
		.amdhsa_exception_fp_ieee_underflow 0
		.amdhsa_exception_fp_ieee_inexact 0
		.amdhsa_exception_int_div_zero 0
	.end_amdhsa_kernel
	.section	.text._ZN9rocsparseL22bsrxmvn_general_kernelILj256ELj16E21rocsparse_complex_numIfEiifS2_S2_EEv20rocsparse_direction_NS_24const_host_device_scalarIT1_EET3_PKS7_PKT2_SC_S9_PKT4_S7_PKT5_S6_PT6_21rocsparse_index_base_b,"axG",@progbits,_ZN9rocsparseL22bsrxmvn_general_kernelILj256ELj16E21rocsparse_complex_numIfEiifS2_S2_EEv20rocsparse_direction_NS_24const_host_device_scalarIT1_EET3_PKS7_PKT2_SC_S9_PKT4_S7_PKT5_S6_PT6_21rocsparse_index_base_b,comdat
.Lfunc_end73:
	.size	_ZN9rocsparseL22bsrxmvn_general_kernelILj256ELj16E21rocsparse_complex_numIfEiifS2_S2_EEv20rocsparse_direction_NS_24const_host_device_scalarIT1_EET3_PKS7_PKT2_SC_S9_PKT4_S7_PKT5_S6_PT6_21rocsparse_index_base_b, .Lfunc_end73-_ZN9rocsparseL22bsrxmvn_general_kernelILj256ELj16E21rocsparse_complex_numIfEiifS2_S2_EEv20rocsparse_direction_NS_24const_host_device_scalarIT1_EET3_PKS7_PKT2_SC_S9_PKT4_S7_PKT5_S6_PT6_21rocsparse_index_base_b
                                        ; -- End function
	.set _ZN9rocsparseL22bsrxmvn_general_kernelILj256ELj16E21rocsparse_complex_numIfEiifS2_S2_EEv20rocsparse_direction_NS_24const_host_device_scalarIT1_EET3_PKS7_PKT2_SC_S9_PKT4_S7_PKT5_S6_PT6_21rocsparse_index_base_b.num_vgpr, 28
	.set _ZN9rocsparseL22bsrxmvn_general_kernelILj256ELj16E21rocsparse_complex_numIfEiifS2_S2_EEv20rocsparse_direction_NS_24const_host_device_scalarIT1_EET3_PKS7_PKT2_SC_S9_PKT4_S7_PKT5_S6_PT6_21rocsparse_index_base_b.num_agpr, 0
	.set _ZN9rocsparseL22bsrxmvn_general_kernelILj256ELj16E21rocsparse_complex_numIfEiifS2_S2_EEv20rocsparse_direction_NS_24const_host_device_scalarIT1_EET3_PKS7_PKT2_SC_S9_PKT4_S7_PKT5_S6_PT6_21rocsparse_index_base_b.numbered_sgpr, 30
	.set _ZN9rocsparseL22bsrxmvn_general_kernelILj256ELj16E21rocsparse_complex_numIfEiifS2_S2_EEv20rocsparse_direction_NS_24const_host_device_scalarIT1_EET3_PKS7_PKT2_SC_S9_PKT4_S7_PKT5_S6_PT6_21rocsparse_index_base_b.num_named_barrier, 0
	.set _ZN9rocsparseL22bsrxmvn_general_kernelILj256ELj16E21rocsparse_complex_numIfEiifS2_S2_EEv20rocsparse_direction_NS_24const_host_device_scalarIT1_EET3_PKS7_PKT2_SC_S9_PKT4_S7_PKT5_S6_PT6_21rocsparse_index_base_b.private_seg_size, 0
	.set _ZN9rocsparseL22bsrxmvn_general_kernelILj256ELj16E21rocsparse_complex_numIfEiifS2_S2_EEv20rocsparse_direction_NS_24const_host_device_scalarIT1_EET3_PKS7_PKT2_SC_S9_PKT4_S7_PKT5_S6_PT6_21rocsparse_index_base_b.uses_vcc, 1
	.set _ZN9rocsparseL22bsrxmvn_general_kernelILj256ELj16E21rocsparse_complex_numIfEiifS2_S2_EEv20rocsparse_direction_NS_24const_host_device_scalarIT1_EET3_PKS7_PKT2_SC_S9_PKT4_S7_PKT5_S6_PT6_21rocsparse_index_base_b.uses_flat_scratch, 0
	.set _ZN9rocsparseL22bsrxmvn_general_kernelILj256ELj16E21rocsparse_complex_numIfEiifS2_S2_EEv20rocsparse_direction_NS_24const_host_device_scalarIT1_EET3_PKS7_PKT2_SC_S9_PKT4_S7_PKT5_S6_PT6_21rocsparse_index_base_b.has_dyn_sized_stack, 0
	.set _ZN9rocsparseL22bsrxmvn_general_kernelILj256ELj16E21rocsparse_complex_numIfEiifS2_S2_EEv20rocsparse_direction_NS_24const_host_device_scalarIT1_EET3_PKS7_PKT2_SC_S9_PKT4_S7_PKT5_S6_PT6_21rocsparse_index_base_b.has_recursion, 0
	.set _ZN9rocsparseL22bsrxmvn_general_kernelILj256ELj16E21rocsparse_complex_numIfEiifS2_S2_EEv20rocsparse_direction_NS_24const_host_device_scalarIT1_EET3_PKS7_PKT2_SC_S9_PKT4_S7_PKT5_S6_PT6_21rocsparse_index_base_b.has_indirect_call, 0
	.section	.AMDGPU.csdata,"",@progbits
; Kernel info:
; codeLenInByte = 1292
; TotalNumSgprs: 32
; NumVgprs: 28
; ScratchSize: 0
; MemoryBound: 0
; FloatMode: 240
; IeeeMode: 1
; LDSByteSize: 0 bytes/workgroup (compile time only)
; SGPRBlocks: 0
; VGPRBlocks: 3
; NumSGPRsForWavesPerEU: 32
; NumVGPRsForWavesPerEU: 28
; Occupancy: 16
; WaveLimiterHint : 1
; COMPUTE_PGM_RSRC2:SCRATCH_EN: 0
; COMPUTE_PGM_RSRC2:USER_SGPR: 6
; COMPUTE_PGM_RSRC2:TRAP_HANDLER: 0
; COMPUTE_PGM_RSRC2:TGID_X_EN: 1
; COMPUTE_PGM_RSRC2:TGID_Y_EN: 0
; COMPUTE_PGM_RSRC2:TGID_Z_EN: 0
; COMPUTE_PGM_RSRC2:TIDIG_COMP_CNT: 0
	.section	.text._ZN9rocsparseL22bsrxmvn_general_kernelILj1024ELj32E21rocsparse_complex_numIfEiifS2_S2_EEv20rocsparse_direction_NS_24const_host_device_scalarIT1_EET3_PKS7_PKT2_SC_S9_PKT4_S7_PKT5_S6_PT6_21rocsparse_index_base_b,"axG",@progbits,_ZN9rocsparseL22bsrxmvn_general_kernelILj1024ELj32E21rocsparse_complex_numIfEiifS2_S2_EEv20rocsparse_direction_NS_24const_host_device_scalarIT1_EET3_PKS7_PKT2_SC_S9_PKT4_S7_PKT5_S6_PT6_21rocsparse_index_base_b,comdat
	.globl	_ZN9rocsparseL22bsrxmvn_general_kernelILj1024ELj32E21rocsparse_complex_numIfEiifS2_S2_EEv20rocsparse_direction_NS_24const_host_device_scalarIT1_EET3_PKS7_PKT2_SC_S9_PKT4_S7_PKT5_S6_PT6_21rocsparse_index_base_b ; -- Begin function _ZN9rocsparseL22bsrxmvn_general_kernelILj1024ELj32E21rocsparse_complex_numIfEiifS2_S2_EEv20rocsparse_direction_NS_24const_host_device_scalarIT1_EET3_PKS7_PKT2_SC_S9_PKT4_S7_PKT5_S6_PT6_21rocsparse_index_base_b
	.p2align	8
	.type	_ZN9rocsparseL22bsrxmvn_general_kernelILj1024ELj32E21rocsparse_complex_numIfEiifS2_S2_EEv20rocsparse_direction_NS_24const_host_device_scalarIT1_EET3_PKS7_PKT2_SC_S9_PKT4_S7_PKT5_S6_PT6_21rocsparse_index_base_b,@function
_ZN9rocsparseL22bsrxmvn_general_kernelILj1024ELj32E21rocsparse_complex_numIfEiifS2_S2_EEv20rocsparse_direction_NS_24const_host_device_scalarIT1_EET3_PKS7_PKT2_SC_S9_PKT4_S7_PKT5_S6_PT6_21rocsparse_index_base_b: ; @_ZN9rocsparseL22bsrxmvn_general_kernelILj1024ELj32E21rocsparse_complex_numIfEiifS2_S2_EEv20rocsparse_direction_NS_24const_host_device_scalarIT1_EET3_PKS7_PKT2_SC_S9_PKT4_S7_PKT5_S6_PT6_21rocsparse_index_base_b
; %bb.0:
	s_clause 0x2
	s_load_dwordx2 s[16:17], s[4:5], 0x60
	s_load_dwordx2 s[0:1], s[4:5], 0x8
	;; [unrolled: 1-line block ×3, first 2 shown]
	s_add_u32 s7, s4, 8
	s_addc_u32 s8, s5, 0
	s_add_u32 s9, s4, 0x50
	s_addc_u32 s10, s5, 0
	s_waitcnt lgkmcnt(0)
	s_bitcmp1_b32 s17, 0
	s_cselect_b32 s0, s7, s0
	s_cselect_b32 s1, s8, s1
	v_mov_b32_e32 v1, s0
	v_mov_b32_e32 v2, s1
	s_cselect_b32 s0, s9, s2
	s_cselect_b32 s1, s10, s3
	v_mov_b32_e32 v3, s0
	v_mov_b32_e32 v4, s1
	flat_load_dwordx2 v[1:2], v[1:2]
	flat_load_dwordx2 v[3:4], v[3:4]
	s_waitcnt vmcnt(1) lgkmcnt(1)
	v_cmp_eq_f32_e32 vcc_lo, 0, v1
	v_cmp_eq_f32_e64 s0, 0, v2
	s_and_b32 s2, vcc_lo, s0
	s_mov_b32 s0, -1
	s_and_saveexec_b32 s1, s2
	s_cbranch_execz .LBB74_2
; %bb.1:
	s_waitcnt vmcnt(0) lgkmcnt(0)
	v_cmp_neq_f32_e32 vcc_lo, 1.0, v3
	v_cmp_neq_f32_e64 s0, 0, v4
	s_or_b32 s0, vcc_lo, s0
	s_orn2_b32 s0, s0, exec_lo
.LBB74_2:
	s_or_b32 exec_lo, exec_lo, s1
	s_and_saveexec_b32 s1, s0
	s_cbranch_execz .LBB74_24
; %bb.3:
	s_load_dwordx2 s[0:1], s[4:5], 0x18
	s_waitcnt lgkmcnt(0)
	s_cmp_eq_u64 s[0:1], 0
	s_cbranch_scc1 .LBB74_5
; %bb.4:
	s_ashr_i32 s7, s6, 31
	s_lshl_b64 s[2:3], s[6:7], 2
	s_add_u32 s0, s0, s2
	s_addc_u32 s1, s1, s3
	s_load_dword s0, s[0:1], 0x0
	s_waitcnt lgkmcnt(0)
	s_sub_i32 s6, s0, s16
.LBB74_5:
	s_load_dword s17, s[4:5], 0x40
	v_lshrrev_b32_e32 v5, 5, v0
	s_waitcnt lgkmcnt(0)
	v_cmp_gt_i32_e32 vcc_lo, s17, v5
	s_and_b32 exec_lo, exec_lo, vcc_lo
	s_cbranch_execz .LBB74_24
; %bb.6:
	s_load_dwordx8 s[8:15], s[4:5], 0x20
	s_ashr_i32 s7, s6, 31
	v_mbcnt_lo_u32_b32 v9, -1, 0
	s_lshl_b64 s[22:23], s[6:7], 2
	s_load_dword s26, s[4:5], 0x0
	v_and_b32_e32 v7, 31, v0
	v_mov_b32_e32 v6, 0
	v_xor_b32_e32 v10, 16, v9
	v_xor_b32_e32 v11, 8, v9
	;; [unrolled: 1-line block ×5, first 2 shown]
	s_mul_i32 s7, s17, s17
	v_mul_lo_u32 v0, s17, v5
	v_mul_lo_u32 v15, s17, v7
	s_waitcnt vmcnt(0)
	v_cmp_eq_f32_e32 vcc_lo, 0, v3
	v_cmp_eq_f32_e64 s2, 0, v4
	v_cmp_gt_u32_e64 s0, s17, v7
	v_mov_b32_e32 v8, v6
	s_mul_i32 s6, s6, s17
	s_waitcnt lgkmcnt(0)
	s_add_u32 s24, s8, s22
	s_addc_u32 s25, s9, s23
	s_load_dword s21, s[24:25], 0x0
	s_clause 0x1
	s_load_dwordx2 s[8:9], s[4:5], 0x58
	s_load_dwordx2 s[18:19], s[4:5], 0x48
	s_mul_hi_u32 s5, s17, s17
	s_mov_b32 s4, 0
	s_waitcnt lgkmcnt(0)
	s_sub_i32 s20, s21, s16
	s_add_u32 s1, s24, 4
	s_addc_u32 s3, s25, 0
	s_add_u32 s22, s10, s22
	s_addc_u32 s23, s11, s23
	s_cmp_eq_u64 s[10:11], 0
	s_cselect_b32 s11, s3, s23
	v_cmp_gt_i32_e64 s3, 32, v10
	s_cselect_b32 s10, s1, s22
	s_mul_hi_u32 s23, s20, s7
	s_load_dword s11, s[10:11], 0x0
	v_cmp_eq_u32_e64 s1, 31, v7
	v_cndmask_b32_e64 v10, v9, v10, s3
	v_cmp_gt_i32_e64 s3, 32, v11
	v_lshlrev_b32_e32 v16, 2, v10
	v_cndmask_b32_e64 v11, v9, v11, s3
	v_cmp_gt_i32_e64 s3, 32, v12
	v_lshlrev_b32_e32 v17, 2, v11
	v_cndmask_b32_e64 v12, v9, v12, s3
	v_cmp_gt_i32_e64 s3, 32, v13
	v_lshlrev_b32_e32 v18, 2, v12
	v_cndmask_b32_e64 v13, v9, v13, s3
	v_cmp_gt_i32_e64 s3, 32, v14
	s_waitcnt lgkmcnt(0)
	s_sub_i32 s10, s11, s16
	s_cmp_lt_i32 s21, s11
	s_mul_i32 s11, s20, s7
	s_cselect_b32 s21, -1, 0
	v_cndmask_b32_e64 v9, v9, v14, s3
	s_cmp_lg_u32 s26, 0
	s_mul_i32 s3, s20, s5
	s_cselect_b32 s22, -1, 0
	s_ashr_i32 s24, s20, 31
	v_lshlrev_b32_e32 v19, 2, v13
	v_lshlrev_b32_e32 v20, 2, v9
	s_add_i32 s3, s23, s3
	s_mul_i32 s24, s24, s7
	s_and_b32 s23, vcc_lo, s2
	s_add_i32 s24, s3, s24
	s_lshl_b32 s25, s17, 5
	s_branch .LBB74_8
.LBB74_7:                               ;   in Loop: Header=BB74_8 Depth=1
	s_or_b32 exec_lo, exec_lo, s2
	v_add_nc_u32_e32 v5, 32, v5
	v_add_nc_u32_e32 v0, s25, v0
	v_cmp_le_i32_e32 vcc_lo, s17, v5
	s_or_b32 s4, vcc_lo, s4
	s_andn2_b32 exec_lo, exec_lo, s4
	s_cbranch_execz .LBB74_24
.LBB74_8:                               ; =>This Loop Header: Depth=1
                                        ;     Child Loop BB74_12 Depth 2
                                        ;       Child Loop BB74_15 Depth 3
	v_mov_b32_e32 v21, 0
	v_mov_b32_e32 v22, 0
	s_andn2_b32 vcc_lo, exec_lo, s21
	s_cbranch_vccnz .LBB74_19
; %bb.9:                                ;   in Loop: Header=BB74_8 Depth=1
	v_ashrrev_i32_e32 v9, 31, v0
	v_add_co_u32 v23, vcc_lo, s11, v0
	v_mov_b32_e32 v21, 0
	v_mov_b32_e32 v22, 0
	v_add_co_ci_u32_e64 v24, null, s24, v9, vcc_lo
	s_mov_b32 s2, s20
	s_branch .LBB74_12
.LBB74_10:                              ;   in Loop: Header=BB74_12 Depth=2
	s_or_b32 exec_lo, exec_lo, s3
.LBB74_11:                              ;   in Loop: Header=BB74_12 Depth=2
	s_or_b32 exec_lo, exec_lo, s26
	v_add_co_u32 v23, vcc_lo, v23, s7
	v_add_co_ci_u32_e64 v24, null, s5, v24, vcc_lo
	s_add_i32 s2, s2, 1
	s_cmp_ge_i32 s2, s10
	s_cbranch_scc1 .LBB74_19
.LBB74_12:                              ;   Parent Loop BB74_8 Depth=1
                                        ; =>  This Loop Header: Depth=2
                                        ;       Child Loop BB74_15 Depth 3
	s_and_saveexec_b32 s26, s0
	s_cbranch_execz .LBB74_11
; %bb.13:                               ;   in Loop: Header=BB74_12 Depth=2
	s_ashr_i32 s3, s2, 31
	s_waitcnt lgkmcnt(1)
	v_mad_u64_u32 v[9:10], null, s7, s2, v[5:6]
	s_lshl_b64 s[28:29], s[2:3], 2
	s_mul_i32 s3, s7, s3
	s_add_u32 s28, s12, s28
	s_addc_u32 s29, s13, s29
	s_waitcnt lgkmcnt(0)
	v_mov_b32_e32 v12, v8
	s_load_dword s27, s[28:29], 0x0
	s_mul_i32 s28, s5, s2
	v_mov_b32_e32 v25, v15
	v_mov_b32_e32 v11, v7
	v_add3_u32 v10, s3, s28, v10
	s_waitcnt lgkmcnt(0)
	s_sub_i32 s3, s27, s16
	s_mul_i32 s27, s3, s17
	s_mov_b32 s3, 0
	s_branch .LBB74_15
.LBB74_14:                              ;   in Loop: Header=BB74_15 Depth=3
	v_add_nc_u32_e32 v26, s27, v11
	v_lshlrev_b64 v[13:14], 2, v[13:14]
	v_add_nc_u32_e32 v25, s25, v25
	v_ashrrev_i32_e32 v27, 31, v26
	v_add_co_u32 v13, vcc_lo, s14, v13
	v_add_co_ci_u32_e64 v14, null, s15, v14, vcc_lo
	v_lshlrev_b64 v[26:27], 3, v[26:27]
	v_add_co_u32 v26, vcc_lo, s18, v26
	v_add_co_ci_u32_e64 v27, null, s19, v27, vcc_lo
	v_add_co_u32 v11, vcc_lo, v11, 32
	global_load_dword v28, v[13:14], off
	global_load_dwordx2 v[13:14], v[26:27], off
	v_add_co_ci_u32_e64 v12, null, 0, v12, vcc_lo
	v_cmp_le_i32_e32 vcc_lo, s17, v11
	s_or_b32 s3, vcc_lo, s3
	s_waitcnt vmcnt(0)
	v_fmac_f32_e32 v22, v28, v13
	v_fmac_f32_e32 v21, 0, v13
	;; [unrolled: 1-line block ×4, first 2 shown]
	s_andn2_b32 exec_lo, exec_lo, s3
	s_cbranch_execz .LBB74_10
.LBB74_15:                              ;   Parent Loop BB74_8 Depth=1
                                        ;     Parent Loop BB74_12 Depth=2
                                        ; =>    This Inner Loop Header: Depth=3
	s_and_b32 vcc_lo, exec_lo, s22
	s_cbranch_vccz .LBB74_17
; %bb.16:                               ;   in Loop: Header=BB74_15 Depth=3
	v_ashrrev_i32_e32 v14, 31, v25
	v_add_co_u32 v13, vcc_lo, v9, v25
	v_add_co_ci_u32_e64 v14, null, v10, v14, vcc_lo
	s_cbranch_execnz .LBB74_14
	s_branch .LBB74_18
.LBB74_17:                              ;   in Loop: Header=BB74_15 Depth=3
                                        ; implicit-def: $vgpr13_vgpr14
.LBB74_18:                              ;   in Loop: Header=BB74_15 Depth=3
	v_add_co_u32 v13, vcc_lo, v23, v11
	v_add_co_ci_u32_e64 v14, null, v24, v12, vcc_lo
	s_branch .LBB74_14
.LBB74_19:                              ;   in Loop: Header=BB74_8 Depth=1
	ds_bpermute_b32 v9, v16, v22
	s_waitcnt lgkmcnt(2)
	ds_bpermute_b32 v10, v16, v21
	s_waitcnt lgkmcnt(1)
	v_add_f32_e32 v9, v22, v9
	s_waitcnt lgkmcnt(0)
	v_add_f32_e32 v10, v21, v10
	ds_bpermute_b32 v11, v17, v9
	ds_bpermute_b32 v12, v17, v10
	s_waitcnt lgkmcnt(1)
	v_add_f32_e32 v9, v9, v11
	s_waitcnt lgkmcnt(0)
	v_add_f32_e32 v10, v10, v12
	ds_bpermute_b32 v11, v18, v9
	;; [unrolled: 6-line block ×4, first 2 shown]
	ds_bpermute_b32 v12, v20, v11
	s_and_saveexec_b32 s2, s1
	s_cbranch_execz .LBB74_7
; %bb.20:                               ;   in Loop: Header=BB74_8 Depth=1
	s_waitcnt lgkmcnt(0)
	v_add_f32_e32 v11, v11, v12
	v_add_f32_e32 v12, v9, v10
	v_mul_f32_e64 v9, v11, -v2
	v_mul_f32_e32 v10, v1, v11
	v_add_nc_u32_e32 v11, s6, v5
	v_fmac_f32_e32 v9, v1, v12
	v_fmac_f32_e32 v10, v2, v12
	v_ashrrev_i32_e32 v12, 31, v11
	s_and_saveexec_b32 s3, s23
	s_xor_b32 s3, exec_lo, s3
	s_cbranch_execz .LBB74_22
; %bb.21:                               ;   in Loop: Header=BB74_8 Depth=1
	v_lshlrev_b64 v[11:12], 3, v[11:12]
	v_add_co_u32 v11, vcc_lo, s8, v11
	v_add_co_ci_u32_e64 v12, null, s9, v12, vcc_lo
	global_store_dwordx2 v[11:12], v[9:10], off
                                        ; implicit-def: $vgpr11
                                        ; implicit-def: $vgpr9
.LBB74_22:                              ;   in Loop: Header=BB74_8 Depth=1
	s_andn2_saveexec_b32 s3, s3
	s_cbranch_execz .LBB74_7
; %bb.23:                               ;   in Loop: Header=BB74_8 Depth=1
	v_lshlrev_b64 v[11:12], 3, v[11:12]
	v_add_co_u32 v11, vcc_lo, s8, v11
	v_add_co_ci_u32_e64 v12, null, s9, v12, vcc_lo
	global_load_dwordx2 v[13:14], v[11:12], off
	s_waitcnt vmcnt(0)
	v_fmac_f32_e32 v9, v3, v13
	v_fmac_f32_e32 v10, v4, v13
	v_fma_f32 v9, -v4, v14, v9
	v_fmac_f32_e32 v10, v3, v14
	global_store_dwordx2 v[11:12], v[9:10], off
	s_branch .LBB74_7
.LBB74_24:
	s_endpgm
	.section	.rodata,"a",@progbits
	.p2align	6, 0x0
	.amdhsa_kernel _ZN9rocsparseL22bsrxmvn_general_kernelILj1024ELj32E21rocsparse_complex_numIfEiifS2_S2_EEv20rocsparse_direction_NS_24const_host_device_scalarIT1_EET3_PKS7_PKT2_SC_S9_PKT4_S7_PKT5_S6_PT6_21rocsparse_index_base_b
		.amdhsa_group_segment_fixed_size 0
		.amdhsa_private_segment_fixed_size 0
		.amdhsa_kernarg_size 104
		.amdhsa_user_sgpr_count 6
		.amdhsa_user_sgpr_private_segment_buffer 1
		.amdhsa_user_sgpr_dispatch_ptr 0
		.amdhsa_user_sgpr_queue_ptr 0
		.amdhsa_user_sgpr_kernarg_segment_ptr 1
		.amdhsa_user_sgpr_dispatch_id 0
		.amdhsa_user_sgpr_flat_scratch_init 0
		.amdhsa_user_sgpr_private_segment_size 0
		.amdhsa_wavefront_size32 1
		.amdhsa_uses_dynamic_stack 0
		.amdhsa_system_sgpr_private_segment_wavefront_offset 0
		.amdhsa_system_sgpr_workgroup_id_x 1
		.amdhsa_system_sgpr_workgroup_id_y 0
		.amdhsa_system_sgpr_workgroup_id_z 0
		.amdhsa_system_sgpr_workgroup_info 0
		.amdhsa_system_vgpr_workitem_id 0
		.amdhsa_next_free_vgpr 29
		.amdhsa_next_free_sgpr 30
		.amdhsa_reserve_vcc 1
		.amdhsa_reserve_flat_scratch 0
		.amdhsa_float_round_mode_32 0
		.amdhsa_float_round_mode_16_64 0
		.amdhsa_float_denorm_mode_32 3
		.amdhsa_float_denorm_mode_16_64 3
		.amdhsa_dx10_clamp 1
		.amdhsa_ieee_mode 1
		.amdhsa_fp16_overflow 0
		.amdhsa_workgroup_processor_mode 1
		.amdhsa_memory_ordered 1
		.amdhsa_forward_progress 1
		.amdhsa_shared_vgpr_count 0
		.amdhsa_exception_fp_ieee_invalid_op 0
		.amdhsa_exception_fp_denorm_src 0
		.amdhsa_exception_fp_ieee_div_zero 0
		.amdhsa_exception_fp_ieee_overflow 0
		.amdhsa_exception_fp_ieee_underflow 0
		.amdhsa_exception_fp_ieee_inexact 0
		.amdhsa_exception_int_div_zero 0
	.end_amdhsa_kernel
	.section	.text._ZN9rocsparseL22bsrxmvn_general_kernelILj1024ELj32E21rocsparse_complex_numIfEiifS2_S2_EEv20rocsparse_direction_NS_24const_host_device_scalarIT1_EET3_PKS7_PKT2_SC_S9_PKT4_S7_PKT5_S6_PT6_21rocsparse_index_base_b,"axG",@progbits,_ZN9rocsparseL22bsrxmvn_general_kernelILj1024ELj32E21rocsparse_complex_numIfEiifS2_S2_EEv20rocsparse_direction_NS_24const_host_device_scalarIT1_EET3_PKS7_PKT2_SC_S9_PKT4_S7_PKT5_S6_PT6_21rocsparse_index_base_b,comdat
.Lfunc_end74:
	.size	_ZN9rocsparseL22bsrxmvn_general_kernelILj1024ELj32E21rocsparse_complex_numIfEiifS2_S2_EEv20rocsparse_direction_NS_24const_host_device_scalarIT1_EET3_PKS7_PKT2_SC_S9_PKT4_S7_PKT5_S6_PT6_21rocsparse_index_base_b, .Lfunc_end74-_ZN9rocsparseL22bsrxmvn_general_kernelILj1024ELj32E21rocsparse_complex_numIfEiifS2_S2_EEv20rocsparse_direction_NS_24const_host_device_scalarIT1_EET3_PKS7_PKT2_SC_S9_PKT4_S7_PKT5_S6_PT6_21rocsparse_index_base_b
                                        ; -- End function
	.set _ZN9rocsparseL22bsrxmvn_general_kernelILj1024ELj32E21rocsparse_complex_numIfEiifS2_S2_EEv20rocsparse_direction_NS_24const_host_device_scalarIT1_EET3_PKS7_PKT2_SC_S9_PKT4_S7_PKT5_S6_PT6_21rocsparse_index_base_b.num_vgpr, 29
	.set _ZN9rocsparseL22bsrxmvn_general_kernelILj1024ELj32E21rocsparse_complex_numIfEiifS2_S2_EEv20rocsparse_direction_NS_24const_host_device_scalarIT1_EET3_PKS7_PKT2_SC_S9_PKT4_S7_PKT5_S6_PT6_21rocsparse_index_base_b.num_agpr, 0
	.set _ZN9rocsparseL22bsrxmvn_general_kernelILj1024ELj32E21rocsparse_complex_numIfEiifS2_S2_EEv20rocsparse_direction_NS_24const_host_device_scalarIT1_EET3_PKS7_PKT2_SC_S9_PKT4_S7_PKT5_S6_PT6_21rocsparse_index_base_b.numbered_sgpr, 30
	.set _ZN9rocsparseL22bsrxmvn_general_kernelILj1024ELj32E21rocsparse_complex_numIfEiifS2_S2_EEv20rocsparse_direction_NS_24const_host_device_scalarIT1_EET3_PKS7_PKT2_SC_S9_PKT4_S7_PKT5_S6_PT6_21rocsparse_index_base_b.num_named_barrier, 0
	.set _ZN9rocsparseL22bsrxmvn_general_kernelILj1024ELj32E21rocsparse_complex_numIfEiifS2_S2_EEv20rocsparse_direction_NS_24const_host_device_scalarIT1_EET3_PKS7_PKT2_SC_S9_PKT4_S7_PKT5_S6_PT6_21rocsparse_index_base_b.private_seg_size, 0
	.set _ZN9rocsparseL22bsrxmvn_general_kernelILj1024ELj32E21rocsparse_complex_numIfEiifS2_S2_EEv20rocsparse_direction_NS_24const_host_device_scalarIT1_EET3_PKS7_PKT2_SC_S9_PKT4_S7_PKT5_S6_PT6_21rocsparse_index_base_b.uses_vcc, 1
	.set _ZN9rocsparseL22bsrxmvn_general_kernelILj1024ELj32E21rocsparse_complex_numIfEiifS2_S2_EEv20rocsparse_direction_NS_24const_host_device_scalarIT1_EET3_PKS7_PKT2_SC_S9_PKT4_S7_PKT5_S6_PT6_21rocsparse_index_base_b.uses_flat_scratch, 0
	.set _ZN9rocsparseL22bsrxmvn_general_kernelILj1024ELj32E21rocsparse_complex_numIfEiifS2_S2_EEv20rocsparse_direction_NS_24const_host_device_scalarIT1_EET3_PKS7_PKT2_SC_S9_PKT4_S7_PKT5_S6_PT6_21rocsparse_index_base_b.has_dyn_sized_stack, 0
	.set _ZN9rocsparseL22bsrxmvn_general_kernelILj1024ELj32E21rocsparse_complex_numIfEiifS2_S2_EEv20rocsparse_direction_NS_24const_host_device_scalarIT1_EET3_PKS7_PKT2_SC_S9_PKT4_S7_PKT5_S6_PT6_21rocsparse_index_base_b.has_recursion, 0
	.set _ZN9rocsparseL22bsrxmvn_general_kernelILj1024ELj32E21rocsparse_complex_numIfEiifS2_S2_EEv20rocsparse_direction_NS_24const_host_device_scalarIT1_EET3_PKS7_PKT2_SC_S9_PKT4_S7_PKT5_S6_PT6_21rocsparse_index_base_b.has_indirect_call, 0
	.section	.AMDGPU.csdata,"",@progbits
; Kernel info:
; codeLenInByte = 1348
; TotalNumSgprs: 32
; NumVgprs: 29
; ScratchSize: 0
; MemoryBound: 0
; FloatMode: 240
; IeeeMode: 1
; LDSByteSize: 0 bytes/workgroup (compile time only)
; SGPRBlocks: 0
; VGPRBlocks: 3
; NumSGPRsForWavesPerEU: 32
; NumVGPRsForWavesPerEU: 29
; Occupancy: 16
; WaveLimiterHint : 1
; COMPUTE_PGM_RSRC2:SCRATCH_EN: 0
; COMPUTE_PGM_RSRC2:USER_SGPR: 6
; COMPUTE_PGM_RSRC2:TRAP_HANDLER: 0
; COMPUTE_PGM_RSRC2:TGID_X_EN: 1
; COMPUTE_PGM_RSRC2:TGID_Y_EN: 0
; COMPUTE_PGM_RSRC2:TGID_Z_EN: 0
; COMPUTE_PGM_RSRC2:TIDIG_COMP_CNT: 0
	.section	.text._ZN9rocsparseL22bsrxmvn_general_kernelILj64ELj8E21rocsparse_complex_numIfElifS2_S2_EEv20rocsparse_direction_NS_24const_host_device_scalarIT1_EET3_PKS7_PKT2_SC_S9_PKT4_S7_PKT5_S6_PT6_21rocsparse_index_base_b,"axG",@progbits,_ZN9rocsparseL22bsrxmvn_general_kernelILj64ELj8E21rocsparse_complex_numIfElifS2_S2_EEv20rocsparse_direction_NS_24const_host_device_scalarIT1_EET3_PKS7_PKT2_SC_S9_PKT4_S7_PKT5_S6_PT6_21rocsparse_index_base_b,comdat
	.globl	_ZN9rocsparseL22bsrxmvn_general_kernelILj64ELj8E21rocsparse_complex_numIfElifS2_S2_EEv20rocsparse_direction_NS_24const_host_device_scalarIT1_EET3_PKS7_PKT2_SC_S9_PKT4_S7_PKT5_S6_PT6_21rocsparse_index_base_b ; -- Begin function _ZN9rocsparseL22bsrxmvn_general_kernelILj64ELj8E21rocsparse_complex_numIfElifS2_S2_EEv20rocsparse_direction_NS_24const_host_device_scalarIT1_EET3_PKS7_PKT2_SC_S9_PKT4_S7_PKT5_S6_PT6_21rocsparse_index_base_b
	.p2align	8
	.type	_ZN9rocsparseL22bsrxmvn_general_kernelILj64ELj8E21rocsparse_complex_numIfElifS2_S2_EEv20rocsparse_direction_NS_24const_host_device_scalarIT1_EET3_PKS7_PKT2_SC_S9_PKT4_S7_PKT5_S6_PT6_21rocsparse_index_base_b,@function
_ZN9rocsparseL22bsrxmvn_general_kernelILj64ELj8E21rocsparse_complex_numIfElifS2_S2_EEv20rocsparse_direction_NS_24const_host_device_scalarIT1_EET3_PKS7_PKT2_SC_S9_PKT4_S7_PKT5_S6_PT6_21rocsparse_index_base_b: ; @_ZN9rocsparseL22bsrxmvn_general_kernelILj64ELj8E21rocsparse_complex_numIfElifS2_S2_EEv20rocsparse_direction_NS_24const_host_device_scalarIT1_EET3_PKS7_PKT2_SC_S9_PKT4_S7_PKT5_S6_PT6_21rocsparse_index_base_b
; %bb.0:
	s_clause 0x2
	s_load_dwordx2 s[16:17], s[4:5], 0x60
	s_load_dwordx2 s[0:1], s[4:5], 0x8
	;; [unrolled: 1-line block ×3, first 2 shown]
	s_add_u32 s7, s4, 8
	s_addc_u32 s8, s5, 0
	s_add_u32 s9, s4, 0x50
	s_addc_u32 s10, s5, 0
	s_waitcnt lgkmcnt(0)
	s_bitcmp1_b32 s17, 0
	s_cselect_b32 s0, s7, s0
	s_cselect_b32 s1, s8, s1
	v_mov_b32_e32 v1, s0
	v_mov_b32_e32 v2, s1
	s_cselect_b32 s0, s9, s2
	s_cselect_b32 s1, s10, s3
	v_mov_b32_e32 v3, s0
	v_mov_b32_e32 v4, s1
	flat_load_dwordx2 v[1:2], v[1:2]
	flat_load_dwordx2 v[3:4], v[3:4]
	s_waitcnt vmcnt(1) lgkmcnt(1)
	v_cmp_eq_f32_e32 vcc_lo, 0, v1
	v_cmp_eq_f32_e64 s0, 0, v2
	s_and_b32 s2, vcc_lo, s0
	s_mov_b32 s0, -1
	s_and_saveexec_b32 s1, s2
	s_cbranch_execz .LBB75_2
; %bb.1:
	s_waitcnt vmcnt(0) lgkmcnt(0)
	v_cmp_neq_f32_e32 vcc_lo, 1.0, v3
	v_cmp_neq_f32_e64 s0, 0, v4
	s_or_b32 s0, vcc_lo, s0
	s_orn2_b32 s0, s0, exec_lo
.LBB75_2:
	s_or_b32 exec_lo, exec_lo, s1
	s_and_saveexec_b32 s1, s0
	s_cbranch_execz .LBB75_24
; %bb.3:
	s_load_dwordx2 s[0:1], s[4:5], 0x18
	s_waitcnt lgkmcnt(0)
	s_cmp_eq_u64 s[0:1], 0
	s_cbranch_scc1 .LBB75_5
; %bb.4:
	s_ashr_i32 s7, s6, 31
	s_lshl_b64 s[2:3], s[6:7], 2
	s_add_u32 s0, s0, s2
	s_addc_u32 s1, s1, s3
	s_load_dword s0, s[0:1], 0x0
	s_waitcnt lgkmcnt(0)
	s_sub_i32 s6, s0, s16
.LBB75_5:
	s_load_dword s17, s[4:5], 0x40
	v_lshrrev_b32_e32 v5, 3, v0
	s_waitcnt lgkmcnt(0)
	v_cmp_gt_i32_e32 vcc_lo, s17, v5
	s_and_b32 exec_lo, exec_lo, vcc_lo
	s_cbranch_execz .LBB75_24
; %bb.6:
	s_load_dwordx8 s[8:15], s[4:5], 0x20
	s_ashr_i32 s7, s6, 31
	s_load_dword s3, s[4:5], 0x0
	s_lshl_b64 s[0:1], s[6:7], 3
	s_mul_i32 s23, s6, s17
	v_mbcnt_lo_u32_b32 v6, -1, 0
	v_and_b32_e32 v7, 7, v0
	s_mul_hi_u32 s21, s17, s17
	s_mul_i32 s22, s17, s17
	v_mul_lo_u32 v0, s17, v5
	v_xor_b32_e32 v9, 4, v6
	v_xor_b32_e32 v10, 2, v6
	;; [unrolled: 1-line block ×3, first 2 shown]
	v_mul_lo_u32 v15, s17, v7
	s_waitcnt vmcnt(0)
	v_cmp_eq_f32_e32 vcc_lo, 0, v3
	v_cmp_eq_f32_e64 s2, 0, v4
	v_mov_b32_e32 v8, 0
	s_mov_b32 s20, 0
	s_waitcnt lgkmcnt(0)
	s_add_u32 s24, s8, s0
	s_addc_u32 s25, s9, s1
	s_load_dwordx2 s[26:27], s[24:25], 0x0
	s_clause 0x1
	s_load_dwordx2 s[8:9], s[4:5], 0x58
	s_load_dwordx2 s[18:19], s[4:5], 0x48
	s_waitcnt lgkmcnt(0)
	s_sub_u32 s4, s26, s16
	s_subb_u32 s5, s27, 0
	s_add_u32 s6, s24, 8
	s_addc_u32 s7, s25, 0
	s_add_u32 s0, s10, s0
	s_addc_u32 s1, s11, s1
	s_cmp_eq_u64 s[10:11], 0
	s_mul_i32 s28, s4, s21
	s_cselect_b32 s1, s7, s1
	s_cselect_b32 s0, s6, s0
	s_mul_hi_u32 s29, s4, s22
	s_load_dwordx2 s[24:25], s[0:1], 0x0
	v_cmp_gt_i32_e64 s1, 32, v9
	v_cmp_gt_u32_e64 s0, s17, v7
	s_mul_i32 s30, s5, s22
	s_mul_i32 s10, s4, s22
	v_cndmask_b32_e64 v9, v6, v9, s1
	v_cmp_gt_i32_e64 s1, 32, v10
	v_lshlrev_b32_e32 v16, 2, v9
	v_cndmask_b32_e64 v10, v6, v10, s1
	v_cmp_gt_i32_e64 s1, 32, v11
	v_lshlrev_b32_e32 v17, 2, v10
	v_cndmask_b32_e64 v6, v6, v11, s1
	v_cmp_eq_u32_e64 s1, 7, v7
	s_waitcnt lgkmcnt(0)
	s_sub_u32 s6, s24, s16
	s_subb_u32 s7, s25, 0
	s_cmp_lg_u32 s3, 0
	v_cmp_lt_i64_e64 s11, s[26:27], s[24:25]
	v_lshlrev_b32_e32 v18, 2, v6
	s_cselect_b32 s24, -1, 0
	s_add_i32 s3, s29, s28
	s_and_b32 s25, vcc_lo, s2
	s_add_i32 s26, s3, s30
	s_lshl_b32 s27, s17, 3
	s_branch .LBB75_8
.LBB75_7:                               ;   in Loop: Header=BB75_8 Depth=1
	s_or_b32 exec_lo, exec_lo, s2
	v_add_nc_u32_e32 v5, 8, v5
	v_add_nc_u32_e32 v0, s27, v0
	v_cmp_le_i32_e32 vcc_lo, s17, v5
	s_or_b32 s20, vcc_lo, s20
	s_andn2_b32 exec_lo, exec_lo, s20
	s_cbranch_execz .LBB75_24
.LBB75_8:                               ; =>This Loop Header: Depth=1
                                        ;     Child Loop BB75_12 Depth 2
                                        ;       Child Loop BB75_15 Depth 3
	v_mov_b32_e32 v19, 0
	v_mov_b32_e32 v20, 0
	s_andn2_b32 vcc_lo, exec_lo, s11
	s_cbranch_vccnz .LBB75_19
; %bb.9:                                ;   in Loop: Header=BB75_8 Depth=1
	s_waitcnt lgkmcnt(1)
	v_ashrrev_i32_e32 v9, 31, v0
	v_add_co_u32 v21, vcc_lo, s10, v0
	v_ashrrev_i32_e32 v6, 31, v5
	v_mov_b32_e32 v19, 0
	v_add_co_ci_u32_e64 v22, null, s26, v9, vcc_lo
	v_mov_b32_e32 v20, 0
	s_mov_b64 s[2:3], s[4:5]
	s_branch .LBB75_12
.LBB75_10:                              ;   in Loop: Header=BB75_12 Depth=2
	s_or_b32 exec_lo, exec_lo, s29
.LBB75_11:                              ;   in Loop: Header=BB75_12 Depth=2
	s_or_b32 exec_lo, exec_lo, s28
	s_add_u32 s2, s2, 1
	s_addc_u32 s3, s3, 0
	v_add_co_u32 v21, vcc_lo, v21, s22
	v_cmp_ge_i64_e64 s28, s[2:3], s[6:7]
	v_add_co_ci_u32_e64 v22, null, s21, v22, vcc_lo
	s_and_b32 vcc_lo, exec_lo, s28
	s_cbranch_vccnz .LBB75_19
.LBB75_12:                              ;   Parent Loop BB75_8 Depth=1
                                        ; =>  This Loop Header: Depth=2
                                        ;       Child Loop BB75_15 Depth 3
	s_and_saveexec_b32 s28, s0
	s_cbranch_execz .LBB75_11
; %bb.13:                               ;   in Loop: Header=BB75_12 Depth=2
	s_lshl_b64 s[30:31], s[2:3], 2
	v_mad_u64_u32 v[9:10], null, s22, s2, v[5:6]
	s_add_u32 s30, s12, s30
	s_addc_u32 s31, s13, s31
	s_waitcnt lgkmcnt(0)
	v_mov_b32_e32 v12, v8
	s_load_dword s29, s[30:31], 0x0
	s_mul_i32 s30, s21, s2
	s_mul_i32 s31, s22, s3
	v_mov_b32_e32 v23, v15
	v_mov_b32_e32 v11, v7
	v_add3_u32 v10, s31, s30, v10
	s_waitcnt lgkmcnt(0)
	s_sub_i32 s29, s29, s16
	s_mul_i32 s30, s29, s17
	s_mov_b32 s29, 0
	s_branch .LBB75_15
.LBB75_14:                              ;   in Loop: Header=BB75_15 Depth=3
	v_add_nc_u32_e32 v24, s30, v11
	v_lshlrev_b64 v[13:14], 2, v[13:14]
	v_add_nc_u32_e32 v23, s27, v23
	v_ashrrev_i32_e32 v25, 31, v24
	v_add_co_u32 v13, vcc_lo, s14, v13
	v_add_co_ci_u32_e64 v14, null, s15, v14, vcc_lo
	v_lshlrev_b64 v[24:25], 3, v[24:25]
	v_add_co_u32 v24, vcc_lo, s18, v24
	v_add_co_ci_u32_e64 v25, null, s19, v25, vcc_lo
	v_add_co_u32 v11, vcc_lo, v11, 8
	global_load_dword v26, v[13:14], off
	global_load_dwordx2 v[13:14], v[24:25], off
	v_add_co_ci_u32_e64 v12, null, 0, v12, vcc_lo
	v_cmp_le_i32_e32 vcc_lo, s17, v11
	s_or_b32 s29, vcc_lo, s29
	s_waitcnt vmcnt(0)
	v_fmac_f32_e32 v20, v26, v13
	v_fmac_f32_e32 v19, 0, v13
	;; [unrolled: 1-line block ×4, first 2 shown]
	s_andn2_b32 exec_lo, exec_lo, s29
	s_cbranch_execz .LBB75_10
.LBB75_15:                              ;   Parent Loop BB75_8 Depth=1
                                        ;     Parent Loop BB75_12 Depth=2
                                        ; =>    This Inner Loop Header: Depth=3
	s_and_b32 vcc_lo, exec_lo, s24
	s_cbranch_vccz .LBB75_17
; %bb.16:                               ;   in Loop: Header=BB75_15 Depth=3
	v_ashrrev_i32_e32 v14, 31, v23
	v_add_co_u32 v13, vcc_lo, v9, v23
	v_add_co_ci_u32_e64 v14, null, v10, v14, vcc_lo
	s_cbranch_execnz .LBB75_14
	s_branch .LBB75_18
.LBB75_17:                              ;   in Loop: Header=BB75_15 Depth=3
                                        ; implicit-def: $vgpr13_vgpr14
.LBB75_18:                              ;   in Loop: Header=BB75_15 Depth=3
	v_add_co_u32 v13, vcc_lo, v21, v11
	v_add_co_ci_u32_e64 v14, null, v22, v12, vcc_lo
	s_branch .LBB75_14
.LBB75_19:                              ;   in Loop: Header=BB75_8 Depth=1
	ds_bpermute_b32 v6, v16, v20
	s_waitcnt lgkmcnt(2)
	ds_bpermute_b32 v9, v16, v19
	s_waitcnt lgkmcnt(1)
	v_add_f32_e32 v6, v20, v6
	s_waitcnt lgkmcnt(0)
	v_add_f32_e32 v9, v19, v9
	ds_bpermute_b32 v10, v17, v6
	ds_bpermute_b32 v11, v17, v9
	s_waitcnt lgkmcnt(1)
	v_add_f32_e32 v6, v6, v10
	s_waitcnt lgkmcnt(0)
	v_add_f32_e32 v10, v9, v11
	ds_bpermute_b32 v9, v18, v6
	ds_bpermute_b32 v11, v18, v10
	s_and_saveexec_b32 s2, s1
	s_cbranch_execz .LBB75_7
; %bb.20:                               ;   in Loop: Header=BB75_8 Depth=1
	s_waitcnt lgkmcnt(0)
	v_add_f32_e32 v10, v10, v11
	v_add_f32_e32 v6, v6, v9
	v_add_nc_u32_e32 v11, s23, v5
	v_mul_f32_e64 v9, v10, -v2
	v_mul_f32_e32 v10, v1, v10
	v_ashrrev_i32_e32 v12, 31, v11
	v_fmac_f32_e32 v9, v1, v6
	v_fmac_f32_e32 v10, v2, v6
	s_and_saveexec_b32 s3, s25
	s_xor_b32 s3, exec_lo, s3
	s_cbranch_execz .LBB75_22
; %bb.21:                               ;   in Loop: Header=BB75_8 Depth=1
	v_lshlrev_b64 v[11:12], 3, v[11:12]
	v_add_co_u32 v11, vcc_lo, s8, v11
	v_add_co_ci_u32_e64 v12, null, s9, v12, vcc_lo
	global_store_dwordx2 v[11:12], v[9:10], off
                                        ; implicit-def: $vgpr11
                                        ; implicit-def: $vgpr9
.LBB75_22:                              ;   in Loop: Header=BB75_8 Depth=1
	s_andn2_saveexec_b32 s3, s3
	s_cbranch_execz .LBB75_7
; %bb.23:                               ;   in Loop: Header=BB75_8 Depth=1
	v_lshlrev_b64 v[11:12], 3, v[11:12]
	v_add_co_u32 v11, vcc_lo, s8, v11
	v_add_co_ci_u32_e64 v12, null, s9, v12, vcc_lo
	global_load_dwordx2 v[13:14], v[11:12], off
	s_waitcnt vmcnt(0)
	v_fmac_f32_e32 v9, v3, v13
	v_fmac_f32_e32 v10, v4, v13
	v_fma_f32 v9, -v4, v14, v9
	v_fmac_f32_e32 v10, v3, v14
	global_store_dwordx2 v[11:12], v[9:10], off
	s_branch .LBB75_7
.LBB75_24:
	s_endpgm
	.section	.rodata,"a",@progbits
	.p2align	6, 0x0
	.amdhsa_kernel _ZN9rocsparseL22bsrxmvn_general_kernelILj64ELj8E21rocsparse_complex_numIfElifS2_S2_EEv20rocsparse_direction_NS_24const_host_device_scalarIT1_EET3_PKS7_PKT2_SC_S9_PKT4_S7_PKT5_S6_PT6_21rocsparse_index_base_b
		.amdhsa_group_segment_fixed_size 0
		.amdhsa_private_segment_fixed_size 0
		.amdhsa_kernarg_size 104
		.amdhsa_user_sgpr_count 6
		.amdhsa_user_sgpr_private_segment_buffer 1
		.amdhsa_user_sgpr_dispatch_ptr 0
		.amdhsa_user_sgpr_queue_ptr 0
		.amdhsa_user_sgpr_kernarg_segment_ptr 1
		.amdhsa_user_sgpr_dispatch_id 0
		.amdhsa_user_sgpr_flat_scratch_init 0
		.amdhsa_user_sgpr_private_segment_size 0
		.amdhsa_wavefront_size32 1
		.amdhsa_uses_dynamic_stack 0
		.amdhsa_system_sgpr_private_segment_wavefront_offset 0
		.amdhsa_system_sgpr_workgroup_id_x 1
		.amdhsa_system_sgpr_workgroup_id_y 0
		.amdhsa_system_sgpr_workgroup_id_z 0
		.amdhsa_system_sgpr_workgroup_info 0
		.amdhsa_system_vgpr_workitem_id 0
		.amdhsa_next_free_vgpr 27
		.amdhsa_next_free_sgpr 32
		.amdhsa_reserve_vcc 1
		.amdhsa_reserve_flat_scratch 0
		.amdhsa_float_round_mode_32 0
		.amdhsa_float_round_mode_16_64 0
		.amdhsa_float_denorm_mode_32 3
		.amdhsa_float_denorm_mode_16_64 3
		.amdhsa_dx10_clamp 1
		.amdhsa_ieee_mode 1
		.amdhsa_fp16_overflow 0
		.amdhsa_workgroup_processor_mode 1
		.amdhsa_memory_ordered 1
		.amdhsa_forward_progress 1
		.amdhsa_shared_vgpr_count 0
		.amdhsa_exception_fp_ieee_invalid_op 0
		.amdhsa_exception_fp_denorm_src 0
		.amdhsa_exception_fp_ieee_div_zero 0
		.amdhsa_exception_fp_ieee_overflow 0
		.amdhsa_exception_fp_ieee_underflow 0
		.amdhsa_exception_fp_ieee_inexact 0
		.amdhsa_exception_int_div_zero 0
	.end_amdhsa_kernel
	.section	.text._ZN9rocsparseL22bsrxmvn_general_kernelILj64ELj8E21rocsparse_complex_numIfElifS2_S2_EEv20rocsparse_direction_NS_24const_host_device_scalarIT1_EET3_PKS7_PKT2_SC_S9_PKT4_S7_PKT5_S6_PT6_21rocsparse_index_base_b,"axG",@progbits,_ZN9rocsparseL22bsrxmvn_general_kernelILj64ELj8E21rocsparse_complex_numIfElifS2_S2_EEv20rocsparse_direction_NS_24const_host_device_scalarIT1_EET3_PKS7_PKT2_SC_S9_PKT4_S7_PKT5_S6_PT6_21rocsparse_index_base_b,comdat
.Lfunc_end75:
	.size	_ZN9rocsparseL22bsrxmvn_general_kernelILj64ELj8E21rocsparse_complex_numIfElifS2_S2_EEv20rocsparse_direction_NS_24const_host_device_scalarIT1_EET3_PKS7_PKT2_SC_S9_PKT4_S7_PKT5_S6_PT6_21rocsparse_index_base_b, .Lfunc_end75-_ZN9rocsparseL22bsrxmvn_general_kernelILj64ELj8E21rocsparse_complex_numIfElifS2_S2_EEv20rocsparse_direction_NS_24const_host_device_scalarIT1_EET3_PKS7_PKT2_SC_S9_PKT4_S7_PKT5_S6_PT6_21rocsparse_index_base_b
                                        ; -- End function
	.set _ZN9rocsparseL22bsrxmvn_general_kernelILj64ELj8E21rocsparse_complex_numIfElifS2_S2_EEv20rocsparse_direction_NS_24const_host_device_scalarIT1_EET3_PKS7_PKT2_SC_S9_PKT4_S7_PKT5_S6_PT6_21rocsparse_index_base_b.num_vgpr, 27
	.set _ZN9rocsparseL22bsrxmvn_general_kernelILj64ELj8E21rocsparse_complex_numIfElifS2_S2_EEv20rocsparse_direction_NS_24const_host_device_scalarIT1_EET3_PKS7_PKT2_SC_S9_PKT4_S7_PKT5_S6_PT6_21rocsparse_index_base_b.num_agpr, 0
	.set _ZN9rocsparseL22bsrxmvn_general_kernelILj64ELj8E21rocsparse_complex_numIfElifS2_S2_EEv20rocsparse_direction_NS_24const_host_device_scalarIT1_EET3_PKS7_PKT2_SC_S9_PKT4_S7_PKT5_S6_PT6_21rocsparse_index_base_b.numbered_sgpr, 32
	.set _ZN9rocsparseL22bsrxmvn_general_kernelILj64ELj8E21rocsparse_complex_numIfElifS2_S2_EEv20rocsparse_direction_NS_24const_host_device_scalarIT1_EET3_PKS7_PKT2_SC_S9_PKT4_S7_PKT5_S6_PT6_21rocsparse_index_base_b.num_named_barrier, 0
	.set _ZN9rocsparseL22bsrxmvn_general_kernelILj64ELj8E21rocsparse_complex_numIfElifS2_S2_EEv20rocsparse_direction_NS_24const_host_device_scalarIT1_EET3_PKS7_PKT2_SC_S9_PKT4_S7_PKT5_S6_PT6_21rocsparse_index_base_b.private_seg_size, 0
	.set _ZN9rocsparseL22bsrxmvn_general_kernelILj64ELj8E21rocsparse_complex_numIfElifS2_S2_EEv20rocsparse_direction_NS_24const_host_device_scalarIT1_EET3_PKS7_PKT2_SC_S9_PKT4_S7_PKT5_S6_PT6_21rocsparse_index_base_b.uses_vcc, 1
	.set _ZN9rocsparseL22bsrxmvn_general_kernelILj64ELj8E21rocsparse_complex_numIfElifS2_S2_EEv20rocsparse_direction_NS_24const_host_device_scalarIT1_EET3_PKS7_PKT2_SC_S9_PKT4_S7_PKT5_S6_PT6_21rocsparse_index_base_b.uses_flat_scratch, 0
	.set _ZN9rocsparseL22bsrxmvn_general_kernelILj64ELj8E21rocsparse_complex_numIfElifS2_S2_EEv20rocsparse_direction_NS_24const_host_device_scalarIT1_EET3_PKS7_PKT2_SC_S9_PKT4_S7_PKT5_S6_PT6_21rocsparse_index_base_b.has_dyn_sized_stack, 0
	.set _ZN9rocsparseL22bsrxmvn_general_kernelILj64ELj8E21rocsparse_complex_numIfElifS2_S2_EEv20rocsparse_direction_NS_24const_host_device_scalarIT1_EET3_PKS7_PKT2_SC_S9_PKT4_S7_PKT5_S6_PT6_21rocsparse_index_base_b.has_recursion, 0
	.set _ZN9rocsparseL22bsrxmvn_general_kernelILj64ELj8E21rocsparse_complex_numIfElifS2_S2_EEv20rocsparse_direction_NS_24const_host_device_scalarIT1_EET3_PKS7_PKT2_SC_S9_PKT4_S7_PKT5_S6_PT6_21rocsparse_index_base_b.has_indirect_call, 0
	.section	.AMDGPU.csdata,"",@progbits
; Kernel info:
; codeLenInByte = 1248
; TotalNumSgprs: 34
; NumVgprs: 27
; ScratchSize: 0
; MemoryBound: 0
; FloatMode: 240
; IeeeMode: 1
; LDSByteSize: 0 bytes/workgroup (compile time only)
; SGPRBlocks: 0
; VGPRBlocks: 3
; NumSGPRsForWavesPerEU: 34
; NumVGPRsForWavesPerEU: 27
; Occupancy: 16
; WaveLimiterHint : 1
; COMPUTE_PGM_RSRC2:SCRATCH_EN: 0
; COMPUTE_PGM_RSRC2:USER_SGPR: 6
; COMPUTE_PGM_RSRC2:TRAP_HANDLER: 0
; COMPUTE_PGM_RSRC2:TGID_X_EN: 1
; COMPUTE_PGM_RSRC2:TGID_Y_EN: 0
; COMPUTE_PGM_RSRC2:TGID_Z_EN: 0
; COMPUTE_PGM_RSRC2:TIDIG_COMP_CNT: 0
	.section	.text._ZN9rocsparseL22bsrxmvn_general_kernelILj256ELj16E21rocsparse_complex_numIfElifS2_S2_EEv20rocsparse_direction_NS_24const_host_device_scalarIT1_EET3_PKS7_PKT2_SC_S9_PKT4_S7_PKT5_S6_PT6_21rocsparse_index_base_b,"axG",@progbits,_ZN9rocsparseL22bsrxmvn_general_kernelILj256ELj16E21rocsparse_complex_numIfElifS2_S2_EEv20rocsparse_direction_NS_24const_host_device_scalarIT1_EET3_PKS7_PKT2_SC_S9_PKT4_S7_PKT5_S6_PT6_21rocsparse_index_base_b,comdat
	.globl	_ZN9rocsparseL22bsrxmvn_general_kernelILj256ELj16E21rocsparse_complex_numIfElifS2_S2_EEv20rocsparse_direction_NS_24const_host_device_scalarIT1_EET3_PKS7_PKT2_SC_S9_PKT4_S7_PKT5_S6_PT6_21rocsparse_index_base_b ; -- Begin function _ZN9rocsparseL22bsrxmvn_general_kernelILj256ELj16E21rocsparse_complex_numIfElifS2_S2_EEv20rocsparse_direction_NS_24const_host_device_scalarIT1_EET3_PKS7_PKT2_SC_S9_PKT4_S7_PKT5_S6_PT6_21rocsparse_index_base_b
	.p2align	8
	.type	_ZN9rocsparseL22bsrxmvn_general_kernelILj256ELj16E21rocsparse_complex_numIfElifS2_S2_EEv20rocsparse_direction_NS_24const_host_device_scalarIT1_EET3_PKS7_PKT2_SC_S9_PKT4_S7_PKT5_S6_PT6_21rocsparse_index_base_b,@function
_ZN9rocsparseL22bsrxmvn_general_kernelILj256ELj16E21rocsparse_complex_numIfElifS2_S2_EEv20rocsparse_direction_NS_24const_host_device_scalarIT1_EET3_PKS7_PKT2_SC_S9_PKT4_S7_PKT5_S6_PT6_21rocsparse_index_base_b: ; @_ZN9rocsparseL22bsrxmvn_general_kernelILj256ELj16E21rocsparse_complex_numIfElifS2_S2_EEv20rocsparse_direction_NS_24const_host_device_scalarIT1_EET3_PKS7_PKT2_SC_S9_PKT4_S7_PKT5_S6_PT6_21rocsparse_index_base_b
; %bb.0:
	s_clause 0x2
	s_load_dwordx2 s[16:17], s[4:5], 0x60
	s_load_dwordx2 s[0:1], s[4:5], 0x8
	;; [unrolled: 1-line block ×3, first 2 shown]
	s_add_u32 s7, s4, 8
	s_addc_u32 s8, s5, 0
	s_add_u32 s9, s4, 0x50
	s_addc_u32 s10, s5, 0
	s_waitcnt lgkmcnt(0)
	s_bitcmp1_b32 s17, 0
	s_cselect_b32 s0, s7, s0
	s_cselect_b32 s1, s8, s1
	v_mov_b32_e32 v1, s0
	v_mov_b32_e32 v2, s1
	s_cselect_b32 s0, s9, s2
	s_cselect_b32 s1, s10, s3
	v_mov_b32_e32 v3, s0
	v_mov_b32_e32 v4, s1
	flat_load_dwordx2 v[1:2], v[1:2]
	flat_load_dwordx2 v[3:4], v[3:4]
	s_waitcnt vmcnt(1) lgkmcnt(1)
	v_cmp_eq_f32_e32 vcc_lo, 0, v1
	v_cmp_eq_f32_e64 s0, 0, v2
	s_and_b32 s2, vcc_lo, s0
	s_mov_b32 s0, -1
	s_and_saveexec_b32 s1, s2
	s_cbranch_execz .LBB76_2
; %bb.1:
	s_waitcnt vmcnt(0) lgkmcnt(0)
	v_cmp_neq_f32_e32 vcc_lo, 1.0, v3
	v_cmp_neq_f32_e64 s0, 0, v4
	s_or_b32 s0, vcc_lo, s0
	s_orn2_b32 s0, s0, exec_lo
.LBB76_2:
	s_or_b32 exec_lo, exec_lo, s1
	s_and_saveexec_b32 s1, s0
	s_cbranch_execz .LBB76_24
; %bb.3:
	s_load_dwordx2 s[0:1], s[4:5], 0x18
	s_waitcnt lgkmcnt(0)
	s_cmp_eq_u64 s[0:1], 0
	s_cbranch_scc1 .LBB76_5
; %bb.4:
	s_ashr_i32 s7, s6, 31
	s_lshl_b64 s[2:3], s[6:7], 2
	s_add_u32 s0, s0, s2
	s_addc_u32 s1, s1, s3
	s_load_dword s0, s[0:1], 0x0
	s_waitcnt lgkmcnt(0)
	s_sub_i32 s6, s0, s16
.LBB76_5:
	s_load_dword s17, s[4:5], 0x40
	v_lshrrev_b32_e32 v5, 4, v0
	s_waitcnt lgkmcnt(0)
	v_cmp_gt_i32_e32 vcc_lo, s17, v5
	s_and_b32 exec_lo, exec_lo, vcc_lo
	s_cbranch_execz .LBB76_24
; %bb.6:
	s_load_dwordx8 s[8:15], s[4:5], 0x20
	s_ashr_i32 s7, s6, 31
	v_mbcnt_lo_u32_b32 v6, -1, 0
	s_lshl_b64 s[26:27], s[6:7], 3
	s_load_dword s30, s[4:5], 0x0
	s_mul_i32 s25, s6, s17
	v_and_b32_e32 v7, 15, v0
	v_xor_b32_e32 v9, 8, v6
	v_xor_b32_e32 v10, 4, v6
	;; [unrolled: 1-line block ×4, first 2 shown]
	s_mul_hi_u32 s23, s17, s17
	s_mul_i32 s24, s17, s17
	v_mul_lo_u32 v0, s17, v5
	v_mul_lo_u32 v15, s17, v7
	s_waitcnt vmcnt(0)
	v_cmp_eq_f32_e32 vcc_lo, 0, v3
	v_cmp_eq_f32_e64 s2, 0, v4
	v_mov_b32_e32 v8, 0
	v_cmp_gt_u32_e64 s0, s17, v7
	s_mov_b32 s22, 0
	s_waitcnt lgkmcnt(0)
	s_add_u32 s28, s8, s26
	s_addc_u32 s29, s9, s27
	s_load_dwordx2 s[20:21], s[28:29], 0x0
	s_clause 0x1
	s_load_dwordx2 s[8:9], s[4:5], 0x58
	s_load_dwordx2 s[18:19], s[4:5], 0x48
	s_waitcnt lgkmcnt(0)
	s_sub_u32 s4, s20, s16
	s_subb_u32 s5, s21, 0
	s_add_u32 s1, s28, 8
	s_addc_u32 s3, s29, 0
	s_add_u32 s6, s10, s26
	s_addc_u32 s7, s11, s27
	s_cmp_eq_u64 s[10:11], 0
	s_mul_hi_u32 s28, s4, s24
	s_cselect_b32 s7, s3, s7
	s_cselect_b32 s6, s1, s6
	v_cmp_gt_i32_e64 s3, 32, v9
	s_load_dwordx2 s[26:27], s[6:7], 0x0
	v_cmp_eq_u32_e64 s1, 15, v7
	s_mul_i32 s29, s5, s24
	s_mul_i32 s10, s4, s24
	v_cndmask_b32_e64 v9, v6, v9, s3
	v_cmp_gt_i32_e64 s3, 32, v10
	v_lshlrev_b32_e32 v16, 2, v9
	v_cndmask_b32_e64 v10, v6, v10, s3
	v_cmp_gt_i32_e64 s3, 32, v11
	v_lshlrev_b32_e32 v17, 2, v10
	v_cndmask_b32_e64 v11, v6, v11, s3
	v_cmp_gt_i32_e64 s3, 32, v12
	s_waitcnt lgkmcnt(0)
	s_sub_u32 s6, s26, s16
	s_subb_u32 s7, s27, 0
	v_cndmask_b32_e64 v6, v6, v12, s3
	s_mul_i32 s3, s4, s23
	s_cmp_lg_u32 s30, 0
	v_cmp_lt_i64_e64 s11, s[20:21], s[26:27]
	v_lshlrev_b32_e32 v18, 2, v11
	v_lshlrev_b32_e32 v19, 2, v6
	s_cselect_b32 s20, -1, 0
	s_add_i32 s3, s28, s3
	s_and_b32 s21, vcc_lo, s2
	s_add_i32 s26, s3, s29
	s_lshl_b32 s27, s17, 4
	s_branch .LBB76_8
.LBB76_7:                               ;   in Loop: Header=BB76_8 Depth=1
	s_or_b32 exec_lo, exec_lo, s2
	v_add_nc_u32_e32 v5, 16, v5
	v_add_nc_u32_e32 v0, s27, v0
	v_cmp_le_i32_e32 vcc_lo, s17, v5
	s_or_b32 s22, vcc_lo, s22
	s_andn2_b32 exec_lo, exec_lo, s22
	s_cbranch_execz .LBB76_24
.LBB76_8:                               ; =>This Loop Header: Depth=1
                                        ;     Child Loop BB76_12 Depth 2
                                        ;       Child Loop BB76_15 Depth 3
	v_mov_b32_e32 v20, 0
	v_mov_b32_e32 v21, 0
	s_andn2_b32 vcc_lo, exec_lo, s11
	s_cbranch_vccnz .LBB76_19
; %bb.9:                                ;   in Loop: Header=BB76_8 Depth=1
	s_waitcnt lgkmcnt(1)
	v_ashrrev_i32_e32 v9, 31, v0
	v_add_co_u32 v22, vcc_lo, s10, v0
	v_ashrrev_i32_e32 v6, 31, v5
	v_mov_b32_e32 v20, 0
	v_add_co_ci_u32_e64 v23, null, s26, v9, vcc_lo
	v_mov_b32_e32 v21, 0
	s_mov_b64 s[2:3], s[4:5]
	s_branch .LBB76_12
.LBB76_10:                              ;   in Loop: Header=BB76_12 Depth=2
	s_or_b32 exec_lo, exec_lo, s29
.LBB76_11:                              ;   in Loop: Header=BB76_12 Depth=2
	s_or_b32 exec_lo, exec_lo, s28
	s_add_u32 s2, s2, 1
	s_addc_u32 s3, s3, 0
	v_add_co_u32 v22, vcc_lo, v22, s24
	v_cmp_ge_i64_e64 s28, s[2:3], s[6:7]
	v_add_co_ci_u32_e64 v23, null, s23, v23, vcc_lo
	s_and_b32 vcc_lo, exec_lo, s28
	s_cbranch_vccnz .LBB76_19
.LBB76_12:                              ;   Parent Loop BB76_8 Depth=1
                                        ; =>  This Loop Header: Depth=2
                                        ;       Child Loop BB76_15 Depth 3
	s_and_saveexec_b32 s28, s0
	s_cbranch_execz .LBB76_11
; %bb.13:                               ;   in Loop: Header=BB76_12 Depth=2
	s_lshl_b64 s[30:31], s[2:3], 2
	v_mad_u64_u32 v[9:10], null, s24, s2, v[5:6]
	s_add_u32 s30, s12, s30
	s_addc_u32 s31, s13, s31
	s_waitcnt lgkmcnt(0)
	v_mov_b32_e32 v12, v8
	s_load_dword s29, s[30:31], 0x0
	s_mul_i32 s30, s23, s2
	s_mul_i32 s31, s24, s3
	v_mov_b32_e32 v24, v15
	v_mov_b32_e32 v11, v7
	v_add3_u32 v10, s31, s30, v10
	s_waitcnt lgkmcnt(0)
	s_sub_i32 s29, s29, s16
	s_mul_i32 s30, s29, s17
	s_mov_b32 s29, 0
	s_branch .LBB76_15
.LBB76_14:                              ;   in Loop: Header=BB76_15 Depth=3
	v_add_nc_u32_e32 v25, s30, v11
	v_lshlrev_b64 v[13:14], 2, v[13:14]
	v_add_nc_u32_e32 v24, s27, v24
	v_ashrrev_i32_e32 v26, 31, v25
	v_add_co_u32 v13, vcc_lo, s14, v13
	v_add_co_ci_u32_e64 v14, null, s15, v14, vcc_lo
	v_lshlrev_b64 v[25:26], 3, v[25:26]
	v_add_co_u32 v25, vcc_lo, s18, v25
	v_add_co_ci_u32_e64 v26, null, s19, v26, vcc_lo
	v_add_co_u32 v11, vcc_lo, v11, 16
	global_load_dword v27, v[13:14], off
	global_load_dwordx2 v[13:14], v[25:26], off
	v_add_co_ci_u32_e64 v12, null, 0, v12, vcc_lo
	v_cmp_le_i32_e32 vcc_lo, s17, v11
	s_or_b32 s29, vcc_lo, s29
	s_waitcnt vmcnt(0)
	v_fmac_f32_e32 v21, v27, v13
	v_fmac_f32_e32 v20, 0, v13
	;; [unrolled: 1-line block ×4, first 2 shown]
	s_andn2_b32 exec_lo, exec_lo, s29
	s_cbranch_execz .LBB76_10
.LBB76_15:                              ;   Parent Loop BB76_8 Depth=1
                                        ;     Parent Loop BB76_12 Depth=2
                                        ; =>    This Inner Loop Header: Depth=3
	s_and_b32 vcc_lo, exec_lo, s20
	s_cbranch_vccz .LBB76_17
; %bb.16:                               ;   in Loop: Header=BB76_15 Depth=3
	v_ashrrev_i32_e32 v14, 31, v24
	v_add_co_u32 v13, vcc_lo, v9, v24
	v_add_co_ci_u32_e64 v14, null, v10, v14, vcc_lo
	s_cbranch_execnz .LBB76_14
	s_branch .LBB76_18
.LBB76_17:                              ;   in Loop: Header=BB76_15 Depth=3
                                        ; implicit-def: $vgpr13_vgpr14
.LBB76_18:                              ;   in Loop: Header=BB76_15 Depth=3
	v_add_co_u32 v13, vcc_lo, v22, v11
	v_add_co_ci_u32_e64 v14, null, v23, v12, vcc_lo
	s_branch .LBB76_14
.LBB76_19:                              ;   in Loop: Header=BB76_8 Depth=1
	ds_bpermute_b32 v6, v16, v21
	s_waitcnt lgkmcnt(2)
	ds_bpermute_b32 v9, v16, v20
	s_waitcnt lgkmcnt(1)
	v_add_f32_e32 v6, v21, v6
	s_waitcnt lgkmcnt(0)
	v_add_f32_e32 v9, v20, v9
	ds_bpermute_b32 v10, v17, v6
	ds_bpermute_b32 v11, v17, v9
	s_waitcnt lgkmcnt(1)
	v_add_f32_e32 v6, v6, v10
	s_waitcnt lgkmcnt(0)
	v_add_f32_e32 v9, v9, v11
	ds_bpermute_b32 v10, v18, v6
	;; [unrolled: 6-line block ×3, first 2 shown]
	ds_bpermute_b32 v11, v19, v10
	s_and_saveexec_b32 s2, s1
	s_cbranch_execz .LBB76_7
; %bb.20:                               ;   in Loop: Header=BB76_8 Depth=1
	s_waitcnt lgkmcnt(0)
	v_add_f32_e32 v10, v10, v11
	v_add_f32_e32 v6, v6, v9
	v_add_nc_u32_e32 v11, s25, v5
	v_mul_f32_e64 v9, v10, -v2
	v_mul_f32_e32 v10, v1, v10
	v_ashrrev_i32_e32 v12, 31, v11
	v_fmac_f32_e32 v9, v1, v6
	v_fmac_f32_e32 v10, v2, v6
	s_and_saveexec_b32 s3, s21
	s_xor_b32 s3, exec_lo, s3
	s_cbranch_execz .LBB76_22
; %bb.21:                               ;   in Loop: Header=BB76_8 Depth=1
	v_lshlrev_b64 v[11:12], 3, v[11:12]
	v_add_co_u32 v11, vcc_lo, s8, v11
	v_add_co_ci_u32_e64 v12, null, s9, v12, vcc_lo
	global_store_dwordx2 v[11:12], v[9:10], off
                                        ; implicit-def: $vgpr11
                                        ; implicit-def: $vgpr9
.LBB76_22:                              ;   in Loop: Header=BB76_8 Depth=1
	s_andn2_saveexec_b32 s3, s3
	s_cbranch_execz .LBB76_7
; %bb.23:                               ;   in Loop: Header=BB76_8 Depth=1
	v_lshlrev_b64 v[11:12], 3, v[11:12]
	v_add_co_u32 v11, vcc_lo, s8, v11
	v_add_co_ci_u32_e64 v12, null, s9, v12, vcc_lo
	global_load_dwordx2 v[13:14], v[11:12], off
	s_waitcnt vmcnt(0)
	v_fmac_f32_e32 v9, v3, v13
	v_fmac_f32_e32 v10, v4, v13
	v_fma_f32 v9, -v4, v14, v9
	v_fmac_f32_e32 v10, v3, v14
	global_store_dwordx2 v[11:12], v[9:10], off
	s_branch .LBB76_7
.LBB76_24:
	s_endpgm
	.section	.rodata,"a",@progbits
	.p2align	6, 0x0
	.amdhsa_kernel _ZN9rocsparseL22bsrxmvn_general_kernelILj256ELj16E21rocsparse_complex_numIfElifS2_S2_EEv20rocsparse_direction_NS_24const_host_device_scalarIT1_EET3_PKS7_PKT2_SC_S9_PKT4_S7_PKT5_S6_PT6_21rocsparse_index_base_b
		.amdhsa_group_segment_fixed_size 0
		.amdhsa_private_segment_fixed_size 0
		.amdhsa_kernarg_size 104
		.amdhsa_user_sgpr_count 6
		.amdhsa_user_sgpr_private_segment_buffer 1
		.amdhsa_user_sgpr_dispatch_ptr 0
		.amdhsa_user_sgpr_queue_ptr 0
		.amdhsa_user_sgpr_kernarg_segment_ptr 1
		.amdhsa_user_sgpr_dispatch_id 0
		.amdhsa_user_sgpr_flat_scratch_init 0
		.amdhsa_user_sgpr_private_segment_size 0
		.amdhsa_wavefront_size32 1
		.amdhsa_uses_dynamic_stack 0
		.amdhsa_system_sgpr_private_segment_wavefront_offset 0
		.amdhsa_system_sgpr_workgroup_id_x 1
		.amdhsa_system_sgpr_workgroup_id_y 0
		.amdhsa_system_sgpr_workgroup_id_z 0
		.amdhsa_system_sgpr_workgroup_info 0
		.amdhsa_system_vgpr_workitem_id 0
		.amdhsa_next_free_vgpr 28
		.amdhsa_next_free_sgpr 32
		.amdhsa_reserve_vcc 1
		.amdhsa_reserve_flat_scratch 0
		.amdhsa_float_round_mode_32 0
		.amdhsa_float_round_mode_16_64 0
		.amdhsa_float_denorm_mode_32 3
		.amdhsa_float_denorm_mode_16_64 3
		.amdhsa_dx10_clamp 1
		.amdhsa_ieee_mode 1
		.amdhsa_fp16_overflow 0
		.amdhsa_workgroup_processor_mode 1
		.amdhsa_memory_ordered 1
		.amdhsa_forward_progress 1
		.amdhsa_shared_vgpr_count 0
		.amdhsa_exception_fp_ieee_invalid_op 0
		.amdhsa_exception_fp_denorm_src 0
		.amdhsa_exception_fp_ieee_div_zero 0
		.amdhsa_exception_fp_ieee_overflow 0
		.amdhsa_exception_fp_ieee_underflow 0
		.amdhsa_exception_fp_ieee_inexact 0
		.amdhsa_exception_int_div_zero 0
	.end_amdhsa_kernel
	.section	.text._ZN9rocsparseL22bsrxmvn_general_kernelILj256ELj16E21rocsparse_complex_numIfElifS2_S2_EEv20rocsparse_direction_NS_24const_host_device_scalarIT1_EET3_PKS7_PKT2_SC_S9_PKT4_S7_PKT5_S6_PT6_21rocsparse_index_base_b,"axG",@progbits,_ZN9rocsparseL22bsrxmvn_general_kernelILj256ELj16E21rocsparse_complex_numIfElifS2_S2_EEv20rocsparse_direction_NS_24const_host_device_scalarIT1_EET3_PKS7_PKT2_SC_S9_PKT4_S7_PKT5_S6_PT6_21rocsparse_index_base_b,comdat
.Lfunc_end76:
	.size	_ZN9rocsparseL22bsrxmvn_general_kernelILj256ELj16E21rocsparse_complex_numIfElifS2_S2_EEv20rocsparse_direction_NS_24const_host_device_scalarIT1_EET3_PKS7_PKT2_SC_S9_PKT4_S7_PKT5_S6_PT6_21rocsparse_index_base_b, .Lfunc_end76-_ZN9rocsparseL22bsrxmvn_general_kernelILj256ELj16E21rocsparse_complex_numIfElifS2_S2_EEv20rocsparse_direction_NS_24const_host_device_scalarIT1_EET3_PKS7_PKT2_SC_S9_PKT4_S7_PKT5_S6_PT6_21rocsparse_index_base_b
                                        ; -- End function
	.set _ZN9rocsparseL22bsrxmvn_general_kernelILj256ELj16E21rocsparse_complex_numIfElifS2_S2_EEv20rocsparse_direction_NS_24const_host_device_scalarIT1_EET3_PKS7_PKT2_SC_S9_PKT4_S7_PKT5_S6_PT6_21rocsparse_index_base_b.num_vgpr, 28
	.set _ZN9rocsparseL22bsrxmvn_general_kernelILj256ELj16E21rocsparse_complex_numIfElifS2_S2_EEv20rocsparse_direction_NS_24const_host_device_scalarIT1_EET3_PKS7_PKT2_SC_S9_PKT4_S7_PKT5_S6_PT6_21rocsparse_index_base_b.num_agpr, 0
	.set _ZN9rocsparseL22bsrxmvn_general_kernelILj256ELj16E21rocsparse_complex_numIfElifS2_S2_EEv20rocsparse_direction_NS_24const_host_device_scalarIT1_EET3_PKS7_PKT2_SC_S9_PKT4_S7_PKT5_S6_PT6_21rocsparse_index_base_b.numbered_sgpr, 32
	.set _ZN9rocsparseL22bsrxmvn_general_kernelILj256ELj16E21rocsparse_complex_numIfElifS2_S2_EEv20rocsparse_direction_NS_24const_host_device_scalarIT1_EET3_PKS7_PKT2_SC_S9_PKT4_S7_PKT5_S6_PT6_21rocsparse_index_base_b.num_named_barrier, 0
	.set _ZN9rocsparseL22bsrxmvn_general_kernelILj256ELj16E21rocsparse_complex_numIfElifS2_S2_EEv20rocsparse_direction_NS_24const_host_device_scalarIT1_EET3_PKS7_PKT2_SC_S9_PKT4_S7_PKT5_S6_PT6_21rocsparse_index_base_b.private_seg_size, 0
	.set _ZN9rocsparseL22bsrxmvn_general_kernelILj256ELj16E21rocsparse_complex_numIfElifS2_S2_EEv20rocsparse_direction_NS_24const_host_device_scalarIT1_EET3_PKS7_PKT2_SC_S9_PKT4_S7_PKT5_S6_PT6_21rocsparse_index_base_b.uses_vcc, 1
	.set _ZN9rocsparseL22bsrxmvn_general_kernelILj256ELj16E21rocsparse_complex_numIfElifS2_S2_EEv20rocsparse_direction_NS_24const_host_device_scalarIT1_EET3_PKS7_PKT2_SC_S9_PKT4_S7_PKT5_S6_PT6_21rocsparse_index_base_b.uses_flat_scratch, 0
	.set _ZN9rocsparseL22bsrxmvn_general_kernelILj256ELj16E21rocsparse_complex_numIfElifS2_S2_EEv20rocsparse_direction_NS_24const_host_device_scalarIT1_EET3_PKS7_PKT2_SC_S9_PKT4_S7_PKT5_S6_PT6_21rocsparse_index_base_b.has_dyn_sized_stack, 0
	.set _ZN9rocsparseL22bsrxmvn_general_kernelILj256ELj16E21rocsparse_complex_numIfElifS2_S2_EEv20rocsparse_direction_NS_24const_host_device_scalarIT1_EET3_PKS7_PKT2_SC_S9_PKT4_S7_PKT5_S6_PT6_21rocsparse_index_base_b.has_recursion, 0
	.set _ZN9rocsparseL22bsrxmvn_general_kernelILj256ELj16E21rocsparse_complex_numIfElifS2_S2_EEv20rocsparse_direction_NS_24const_host_device_scalarIT1_EET3_PKS7_PKT2_SC_S9_PKT4_S7_PKT5_S6_PT6_21rocsparse_index_base_b.has_indirect_call, 0
	.section	.AMDGPU.csdata,"",@progbits
; Kernel info:
; codeLenInByte = 1304
; TotalNumSgprs: 34
; NumVgprs: 28
; ScratchSize: 0
; MemoryBound: 0
; FloatMode: 240
; IeeeMode: 1
; LDSByteSize: 0 bytes/workgroup (compile time only)
; SGPRBlocks: 0
; VGPRBlocks: 3
; NumSGPRsForWavesPerEU: 34
; NumVGPRsForWavesPerEU: 28
; Occupancy: 16
; WaveLimiterHint : 1
; COMPUTE_PGM_RSRC2:SCRATCH_EN: 0
; COMPUTE_PGM_RSRC2:USER_SGPR: 6
; COMPUTE_PGM_RSRC2:TRAP_HANDLER: 0
; COMPUTE_PGM_RSRC2:TGID_X_EN: 1
; COMPUTE_PGM_RSRC2:TGID_Y_EN: 0
; COMPUTE_PGM_RSRC2:TGID_Z_EN: 0
; COMPUTE_PGM_RSRC2:TIDIG_COMP_CNT: 0
	.section	.text._ZN9rocsparseL22bsrxmvn_general_kernelILj1024ELj32E21rocsparse_complex_numIfElifS2_S2_EEv20rocsparse_direction_NS_24const_host_device_scalarIT1_EET3_PKS7_PKT2_SC_S9_PKT4_S7_PKT5_S6_PT6_21rocsparse_index_base_b,"axG",@progbits,_ZN9rocsparseL22bsrxmvn_general_kernelILj1024ELj32E21rocsparse_complex_numIfElifS2_S2_EEv20rocsparse_direction_NS_24const_host_device_scalarIT1_EET3_PKS7_PKT2_SC_S9_PKT4_S7_PKT5_S6_PT6_21rocsparse_index_base_b,comdat
	.globl	_ZN9rocsparseL22bsrxmvn_general_kernelILj1024ELj32E21rocsparse_complex_numIfElifS2_S2_EEv20rocsparse_direction_NS_24const_host_device_scalarIT1_EET3_PKS7_PKT2_SC_S9_PKT4_S7_PKT5_S6_PT6_21rocsparse_index_base_b ; -- Begin function _ZN9rocsparseL22bsrxmvn_general_kernelILj1024ELj32E21rocsparse_complex_numIfElifS2_S2_EEv20rocsparse_direction_NS_24const_host_device_scalarIT1_EET3_PKS7_PKT2_SC_S9_PKT4_S7_PKT5_S6_PT6_21rocsparse_index_base_b
	.p2align	8
	.type	_ZN9rocsparseL22bsrxmvn_general_kernelILj1024ELj32E21rocsparse_complex_numIfElifS2_S2_EEv20rocsparse_direction_NS_24const_host_device_scalarIT1_EET3_PKS7_PKT2_SC_S9_PKT4_S7_PKT5_S6_PT6_21rocsparse_index_base_b,@function
_ZN9rocsparseL22bsrxmvn_general_kernelILj1024ELj32E21rocsparse_complex_numIfElifS2_S2_EEv20rocsparse_direction_NS_24const_host_device_scalarIT1_EET3_PKS7_PKT2_SC_S9_PKT4_S7_PKT5_S6_PT6_21rocsparse_index_base_b: ; @_ZN9rocsparseL22bsrxmvn_general_kernelILj1024ELj32E21rocsparse_complex_numIfElifS2_S2_EEv20rocsparse_direction_NS_24const_host_device_scalarIT1_EET3_PKS7_PKT2_SC_S9_PKT4_S7_PKT5_S6_PT6_21rocsparse_index_base_b
; %bb.0:
	s_clause 0x2
	s_load_dwordx2 s[16:17], s[4:5], 0x60
	s_load_dwordx2 s[0:1], s[4:5], 0x8
	;; [unrolled: 1-line block ×3, first 2 shown]
	s_add_u32 s7, s4, 8
	s_addc_u32 s8, s5, 0
	s_add_u32 s9, s4, 0x50
	s_addc_u32 s10, s5, 0
	s_waitcnt lgkmcnt(0)
	s_bitcmp1_b32 s17, 0
	s_cselect_b32 s0, s7, s0
	s_cselect_b32 s1, s8, s1
	v_mov_b32_e32 v1, s0
	v_mov_b32_e32 v2, s1
	s_cselect_b32 s0, s9, s2
	s_cselect_b32 s1, s10, s3
	v_mov_b32_e32 v3, s0
	v_mov_b32_e32 v4, s1
	flat_load_dwordx2 v[1:2], v[1:2]
	flat_load_dwordx2 v[3:4], v[3:4]
	s_waitcnt vmcnt(1) lgkmcnt(1)
	v_cmp_eq_f32_e32 vcc_lo, 0, v1
	v_cmp_eq_f32_e64 s0, 0, v2
	s_and_b32 s2, vcc_lo, s0
	s_mov_b32 s0, -1
	s_and_saveexec_b32 s1, s2
	s_cbranch_execz .LBB77_2
; %bb.1:
	s_waitcnt vmcnt(0) lgkmcnt(0)
	v_cmp_neq_f32_e32 vcc_lo, 1.0, v3
	v_cmp_neq_f32_e64 s0, 0, v4
	s_or_b32 s0, vcc_lo, s0
	s_orn2_b32 s0, s0, exec_lo
.LBB77_2:
	s_or_b32 exec_lo, exec_lo, s1
	s_and_saveexec_b32 s1, s0
	s_cbranch_execz .LBB77_24
; %bb.3:
	s_load_dwordx2 s[0:1], s[4:5], 0x18
	s_waitcnt lgkmcnt(0)
	s_cmp_eq_u64 s[0:1], 0
	s_cbranch_scc1 .LBB77_5
; %bb.4:
	s_ashr_i32 s7, s6, 31
	s_lshl_b64 s[2:3], s[6:7], 2
	s_add_u32 s0, s0, s2
	s_addc_u32 s1, s1, s3
	s_load_dword s0, s[0:1], 0x0
	s_waitcnt lgkmcnt(0)
	s_sub_i32 s6, s0, s16
.LBB77_5:
	s_load_dword s17, s[4:5], 0x40
	v_lshrrev_b32_e32 v5, 5, v0
	s_waitcnt lgkmcnt(0)
	v_cmp_gt_i32_e32 vcc_lo, s17, v5
	s_and_b32 exec_lo, exec_lo, vcc_lo
	s_cbranch_execz .LBB77_24
; %bb.6:
	s_load_dwordx8 s[8:15], s[4:5], 0x20
	s_ashr_i32 s7, s6, 31
	v_mbcnt_lo_u32_b32 v9, -1, 0
	s_lshl_b64 s[26:27], s[6:7], 3
	s_load_dword s30, s[4:5], 0x0
	s_mul_i32 s25, s6, s17
	v_and_b32_e32 v7, 31, v0
	v_xor_b32_e32 v10, 16, v9
	v_xor_b32_e32 v11, 8, v9
	;; [unrolled: 1-line block ×5, first 2 shown]
	v_mov_b32_e32 v6, 0
	s_mul_hi_u32 s23, s17, s17
	s_mul_i32 s24, s17, s17
	v_mul_lo_u32 v0, s17, v5
	v_mul_lo_u32 v15, s17, v7
	s_waitcnt vmcnt(0)
	v_cmp_eq_f32_e32 vcc_lo, 0, v3
	v_cmp_eq_f32_e64 s2, 0, v4
	v_cmp_gt_u32_e64 s0, s17, v7
	s_waitcnt lgkmcnt(0)
	s_add_u32 s28, s8, s26
	s_addc_u32 s29, s9, s27
	v_cmp_eq_u32_e64 s1, 31, v7
	s_load_dwordx2 s[20:21], s[28:29], 0x0
	s_clause 0x1
	s_load_dwordx2 s[8:9], s[4:5], 0x58
	s_load_dwordx2 s[18:19], s[4:5], 0x48
	v_mov_b32_e32 v8, v6
	s_mov_b32 s22, 0
	s_waitcnt lgkmcnt(0)
	s_sub_u32 s4, s20, s16
	s_subb_u32 s5, s21, 0
	s_add_u32 s3, s28, 8
	s_addc_u32 s6, s29, 0
	s_add_u32 s26, s10, s26
	s_addc_u32 s7, s11, s27
	s_cmp_eq_u64 s[10:11], 0
	s_mul_hi_u32 s28, s4, s24
	s_cselect_b32 s7, s6, s7
	s_cselect_b32 s6, s3, s26
	v_cmp_gt_i32_e64 s3, 32, v10
	s_load_dwordx2 s[26:27], s[6:7], 0x0
	s_mul_i32 s29, s5, s24
	s_mul_i32 s10, s4, s24
	v_cndmask_b32_e64 v10, v9, v10, s3
	v_cmp_gt_i32_e64 s3, 32, v11
	v_lshlrev_b32_e32 v16, 2, v10
	v_cndmask_b32_e64 v11, v9, v11, s3
	v_cmp_gt_i32_e64 s3, 32, v12
	v_lshlrev_b32_e32 v17, 2, v11
	v_cndmask_b32_e64 v12, v9, v12, s3
	v_cmp_gt_i32_e64 s3, 32, v13
	s_waitcnt lgkmcnt(0)
	s_sub_u32 s6, s26, s16
	s_subb_u32 s7, s27, 0
	v_cndmask_b32_e64 v13, v9, v13, s3
	v_cmp_gt_i32_e64 s3, 32, v14
	s_cmp_lg_u32 s30, 0
	v_cmp_lt_i64_e64 s11, s[20:21], s[26:27]
	v_lshlrev_b32_e32 v18, 2, v12
	v_lshlrev_b32_e32 v19, 2, v13
	v_cndmask_b32_e64 v9, v9, v14, s3
	s_mul_i32 s3, s4, s23
	s_cselect_b32 s20, -1, 0
	s_add_i32 s3, s28, s3
	s_and_b32 s21, vcc_lo, s2
	v_lshlrev_b32_e32 v20, 2, v9
	s_add_i32 s26, s3, s29
	s_lshl_b32 s27, s17, 5
	s_branch .LBB77_8
.LBB77_7:                               ;   in Loop: Header=BB77_8 Depth=1
	s_or_b32 exec_lo, exec_lo, s2
	v_add_nc_u32_e32 v5, 32, v5
	v_add_nc_u32_e32 v0, s27, v0
	v_cmp_le_i32_e32 vcc_lo, s17, v5
	s_or_b32 s22, vcc_lo, s22
	s_andn2_b32 exec_lo, exec_lo, s22
	s_cbranch_execz .LBB77_24
.LBB77_8:                               ; =>This Loop Header: Depth=1
                                        ;     Child Loop BB77_12 Depth 2
                                        ;       Child Loop BB77_15 Depth 3
	v_mov_b32_e32 v21, 0
	v_mov_b32_e32 v22, 0
	s_andn2_b32 vcc_lo, exec_lo, s11
	s_cbranch_vccnz .LBB77_19
; %bb.9:                                ;   in Loop: Header=BB77_8 Depth=1
	v_ashrrev_i32_e32 v9, 31, v0
	v_add_co_u32 v23, vcc_lo, s10, v0
	v_mov_b32_e32 v21, 0
	v_mov_b32_e32 v22, 0
	v_add_co_ci_u32_e64 v24, null, s26, v9, vcc_lo
	s_mov_b64 s[2:3], s[4:5]
	s_branch .LBB77_12
.LBB77_10:                              ;   in Loop: Header=BB77_12 Depth=2
	s_or_b32 exec_lo, exec_lo, s29
.LBB77_11:                              ;   in Loop: Header=BB77_12 Depth=2
	s_or_b32 exec_lo, exec_lo, s28
	s_add_u32 s2, s2, 1
	s_addc_u32 s3, s3, 0
	v_add_co_u32 v23, vcc_lo, v23, s24
	v_cmp_ge_i64_e64 s28, s[2:3], s[6:7]
	v_add_co_ci_u32_e64 v24, null, s23, v24, vcc_lo
	s_and_b32 vcc_lo, exec_lo, s28
	s_cbranch_vccnz .LBB77_19
.LBB77_12:                              ;   Parent Loop BB77_8 Depth=1
                                        ; =>  This Loop Header: Depth=2
                                        ;       Child Loop BB77_15 Depth 3
	s_and_saveexec_b32 s28, s0
	s_cbranch_execz .LBB77_11
; %bb.13:                               ;   in Loop: Header=BB77_12 Depth=2
	s_lshl_b64 s[30:31], s[2:3], 2
	s_waitcnt lgkmcnt(1)
	v_mad_u64_u32 v[9:10], null, s24, s2, v[5:6]
	s_add_u32 s30, s12, s30
	s_addc_u32 s31, s13, s31
	s_waitcnt lgkmcnt(0)
	v_mov_b32_e32 v12, v8
	s_load_dword s29, s[30:31], 0x0
	s_mul_i32 s30, s23, s2
	s_mul_i32 s31, s24, s3
	v_mov_b32_e32 v25, v15
	v_mov_b32_e32 v11, v7
	v_add3_u32 v10, s31, s30, v10
	s_waitcnt lgkmcnt(0)
	s_sub_i32 s29, s29, s16
	s_mul_i32 s30, s29, s17
	s_mov_b32 s29, 0
	s_branch .LBB77_15
.LBB77_14:                              ;   in Loop: Header=BB77_15 Depth=3
	v_add_nc_u32_e32 v26, s30, v11
	v_lshlrev_b64 v[13:14], 2, v[13:14]
	v_add_nc_u32_e32 v25, s27, v25
	v_ashrrev_i32_e32 v27, 31, v26
	v_add_co_u32 v13, vcc_lo, s14, v13
	v_add_co_ci_u32_e64 v14, null, s15, v14, vcc_lo
	v_lshlrev_b64 v[26:27], 3, v[26:27]
	v_add_co_u32 v26, vcc_lo, s18, v26
	v_add_co_ci_u32_e64 v27, null, s19, v27, vcc_lo
	v_add_co_u32 v11, vcc_lo, v11, 32
	global_load_dword v28, v[13:14], off
	global_load_dwordx2 v[13:14], v[26:27], off
	v_add_co_ci_u32_e64 v12, null, 0, v12, vcc_lo
	v_cmp_le_i32_e32 vcc_lo, s17, v11
	s_or_b32 s29, vcc_lo, s29
	s_waitcnt vmcnt(0)
	v_fmac_f32_e32 v22, v28, v13
	v_fmac_f32_e32 v21, 0, v13
	;; [unrolled: 1-line block ×4, first 2 shown]
	s_andn2_b32 exec_lo, exec_lo, s29
	s_cbranch_execz .LBB77_10
.LBB77_15:                              ;   Parent Loop BB77_8 Depth=1
                                        ;     Parent Loop BB77_12 Depth=2
                                        ; =>    This Inner Loop Header: Depth=3
	s_and_b32 vcc_lo, exec_lo, s20
	s_cbranch_vccz .LBB77_17
; %bb.16:                               ;   in Loop: Header=BB77_15 Depth=3
	v_ashrrev_i32_e32 v14, 31, v25
	v_add_co_u32 v13, vcc_lo, v9, v25
	v_add_co_ci_u32_e64 v14, null, v10, v14, vcc_lo
	s_cbranch_execnz .LBB77_14
	s_branch .LBB77_18
.LBB77_17:                              ;   in Loop: Header=BB77_15 Depth=3
                                        ; implicit-def: $vgpr13_vgpr14
.LBB77_18:                              ;   in Loop: Header=BB77_15 Depth=3
	v_add_co_u32 v13, vcc_lo, v23, v11
	v_add_co_ci_u32_e64 v14, null, v24, v12, vcc_lo
	s_branch .LBB77_14
.LBB77_19:                              ;   in Loop: Header=BB77_8 Depth=1
	ds_bpermute_b32 v9, v16, v22
	s_waitcnt lgkmcnt(2)
	ds_bpermute_b32 v10, v16, v21
	s_waitcnt lgkmcnt(1)
	v_add_f32_e32 v9, v22, v9
	s_waitcnt lgkmcnt(0)
	v_add_f32_e32 v10, v21, v10
	ds_bpermute_b32 v11, v17, v9
	ds_bpermute_b32 v12, v17, v10
	s_waitcnt lgkmcnt(1)
	v_add_f32_e32 v9, v9, v11
	s_waitcnt lgkmcnt(0)
	v_add_f32_e32 v10, v10, v12
	ds_bpermute_b32 v11, v18, v9
	;; [unrolled: 6-line block ×4, first 2 shown]
	ds_bpermute_b32 v12, v20, v11
	s_and_saveexec_b32 s2, s1
	s_cbranch_execz .LBB77_7
; %bb.20:                               ;   in Loop: Header=BB77_8 Depth=1
	s_waitcnt lgkmcnt(0)
	v_add_f32_e32 v11, v11, v12
	v_add_f32_e32 v12, v9, v10
	v_mul_f32_e64 v9, v11, -v2
	v_mul_f32_e32 v10, v1, v11
	v_add_nc_u32_e32 v11, s25, v5
	v_fmac_f32_e32 v9, v1, v12
	v_fmac_f32_e32 v10, v2, v12
	v_ashrrev_i32_e32 v12, 31, v11
	s_and_saveexec_b32 s3, s21
	s_xor_b32 s3, exec_lo, s3
	s_cbranch_execz .LBB77_22
; %bb.21:                               ;   in Loop: Header=BB77_8 Depth=1
	v_lshlrev_b64 v[11:12], 3, v[11:12]
	v_add_co_u32 v11, vcc_lo, s8, v11
	v_add_co_ci_u32_e64 v12, null, s9, v12, vcc_lo
	global_store_dwordx2 v[11:12], v[9:10], off
                                        ; implicit-def: $vgpr11
                                        ; implicit-def: $vgpr9
.LBB77_22:                              ;   in Loop: Header=BB77_8 Depth=1
	s_andn2_saveexec_b32 s3, s3
	s_cbranch_execz .LBB77_7
; %bb.23:                               ;   in Loop: Header=BB77_8 Depth=1
	v_lshlrev_b64 v[11:12], 3, v[11:12]
	v_add_co_u32 v11, vcc_lo, s8, v11
	v_add_co_ci_u32_e64 v12, null, s9, v12, vcc_lo
	global_load_dwordx2 v[13:14], v[11:12], off
	s_waitcnt vmcnt(0)
	v_fmac_f32_e32 v9, v3, v13
	v_fmac_f32_e32 v10, v4, v13
	v_fma_f32 v9, -v4, v14, v9
	v_fmac_f32_e32 v10, v3, v14
	global_store_dwordx2 v[11:12], v[9:10], off
	s_branch .LBB77_7
.LBB77_24:
	s_endpgm
	.section	.rodata,"a",@progbits
	.p2align	6, 0x0
	.amdhsa_kernel _ZN9rocsparseL22bsrxmvn_general_kernelILj1024ELj32E21rocsparse_complex_numIfElifS2_S2_EEv20rocsparse_direction_NS_24const_host_device_scalarIT1_EET3_PKS7_PKT2_SC_S9_PKT4_S7_PKT5_S6_PT6_21rocsparse_index_base_b
		.amdhsa_group_segment_fixed_size 0
		.amdhsa_private_segment_fixed_size 0
		.amdhsa_kernarg_size 104
		.amdhsa_user_sgpr_count 6
		.amdhsa_user_sgpr_private_segment_buffer 1
		.amdhsa_user_sgpr_dispatch_ptr 0
		.amdhsa_user_sgpr_queue_ptr 0
		.amdhsa_user_sgpr_kernarg_segment_ptr 1
		.amdhsa_user_sgpr_dispatch_id 0
		.amdhsa_user_sgpr_flat_scratch_init 0
		.amdhsa_user_sgpr_private_segment_size 0
		.amdhsa_wavefront_size32 1
		.amdhsa_uses_dynamic_stack 0
		.amdhsa_system_sgpr_private_segment_wavefront_offset 0
		.amdhsa_system_sgpr_workgroup_id_x 1
		.amdhsa_system_sgpr_workgroup_id_y 0
		.amdhsa_system_sgpr_workgroup_id_z 0
		.amdhsa_system_sgpr_workgroup_info 0
		.amdhsa_system_vgpr_workitem_id 0
		.amdhsa_next_free_vgpr 29
		.amdhsa_next_free_sgpr 32
		.amdhsa_reserve_vcc 1
		.amdhsa_reserve_flat_scratch 0
		.amdhsa_float_round_mode_32 0
		.amdhsa_float_round_mode_16_64 0
		.amdhsa_float_denorm_mode_32 3
		.amdhsa_float_denorm_mode_16_64 3
		.amdhsa_dx10_clamp 1
		.amdhsa_ieee_mode 1
		.amdhsa_fp16_overflow 0
		.amdhsa_workgroup_processor_mode 1
		.amdhsa_memory_ordered 1
		.amdhsa_forward_progress 1
		.amdhsa_shared_vgpr_count 0
		.amdhsa_exception_fp_ieee_invalid_op 0
		.amdhsa_exception_fp_denorm_src 0
		.amdhsa_exception_fp_ieee_div_zero 0
		.amdhsa_exception_fp_ieee_overflow 0
		.amdhsa_exception_fp_ieee_underflow 0
		.amdhsa_exception_fp_ieee_inexact 0
		.amdhsa_exception_int_div_zero 0
	.end_amdhsa_kernel
	.section	.text._ZN9rocsparseL22bsrxmvn_general_kernelILj1024ELj32E21rocsparse_complex_numIfElifS2_S2_EEv20rocsparse_direction_NS_24const_host_device_scalarIT1_EET3_PKS7_PKT2_SC_S9_PKT4_S7_PKT5_S6_PT6_21rocsparse_index_base_b,"axG",@progbits,_ZN9rocsparseL22bsrxmvn_general_kernelILj1024ELj32E21rocsparse_complex_numIfElifS2_S2_EEv20rocsparse_direction_NS_24const_host_device_scalarIT1_EET3_PKS7_PKT2_SC_S9_PKT4_S7_PKT5_S6_PT6_21rocsparse_index_base_b,comdat
.Lfunc_end77:
	.size	_ZN9rocsparseL22bsrxmvn_general_kernelILj1024ELj32E21rocsparse_complex_numIfElifS2_S2_EEv20rocsparse_direction_NS_24const_host_device_scalarIT1_EET3_PKS7_PKT2_SC_S9_PKT4_S7_PKT5_S6_PT6_21rocsparse_index_base_b, .Lfunc_end77-_ZN9rocsparseL22bsrxmvn_general_kernelILj1024ELj32E21rocsparse_complex_numIfElifS2_S2_EEv20rocsparse_direction_NS_24const_host_device_scalarIT1_EET3_PKS7_PKT2_SC_S9_PKT4_S7_PKT5_S6_PT6_21rocsparse_index_base_b
                                        ; -- End function
	.set _ZN9rocsparseL22bsrxmvn_general_kernelILj1024ELj32E21rocsparse_complex_numIfElifS2_S2_EEv20rocsparse_direction_NS_24const_host_device_scalarIT1_EET3_PKS7_PKT2_SC_S9_PKT4_S7_PKT5_S6_PT6_21rocsparse_index_base_b.num_vgpr, 29
	.set _ZN9rocsparseL22bsrxmvn_general_kernelILj1024ELj32E21rocsparse_complex_numIfElifS2_S2_EEv20rocsparse_direction_NS_24const_host_device_scalarIT1_EET3_PKS7_PKT2_SC_S9_PKT4_S7_PKT5_S6_PT6_21rocsparse_index_base_b.num_agpr, 0
	.set _ZN9rocsparseL22bsrxmvn_general_kernelILj1024ELj32E21rocsparse_complex_numIfElifS2_S2_EEv20rocsparse_direction_NS_24const_host_device_scalarIT1_EET3_PKS7_PKT2_SC_S9_PKT4_S7_PKT5_S6_PT6_21rocsparse_index_base_b.numbered_sgpr, 32
	.set _ZN9rocsparseL22bsrxmvn_general_kernelILj1024ELj32E21rocsparse_complex_numIfElifS2_S2_EEv20rocsparse_direction_NS_24const_host_device_scalarIT1_EET3_PKS7_PKT2_SC_S9_PKT4_S7_PKT5_S6_PT6_21rocsparse_index_base_b.num_named_barrier, 0
	.set _ZN9rocsparseL22bsrxmvn_general_kernelILj1024ELj32E21rocsparse_complex_numIfElifS2_S2_EEv20rocsparse_direction_NS_24const_host_device_scalarIT1_EET3_PKS7_PKT2_SC_S9_PKT4_S7_PKT5_S6_PT6_21rocsparse_index_base_b.private_seg_size, 0
	.set _ZN9rocsparseL22bsrxmvn_general_kernelILj1024ELj32E21rocsparse_complex_numIfElifS2_S2_EEv20rocsparse_direction_NS_24const_host_device_scalarIT1_EET3_PKS7_PKT2_SC_S9_PKT4_S7_PKT5_S6_PT6_21rocsparse_index_base_b.uses_vcc, 1
	.set _ZN9rocsparseL22bsrxmvn_general_kernelILj1024ELj32E21rocsparse_complex_numIfElifS2_S2_EEv20rocsparse_direction_NS_24const_host_device_scalarIT1_EET3_PKS7_PKT2_SC_S9_PKT4_S7_PKT5_S6_PT6_21rocsparse_index_base_b.uses_flat_scratch, 0
	.set _ZN9rocsparseL22bsrxmvn_general_kernelILj1024ELj32E21rocsparse_complex_numIfElifS2_S2_EEv20rocsparse_direction_NS_24const_host_device_scalarIT1_EET3_PKS7_PKT2_SC_S9_PKT4_S7_PKT5_S6_PT6_21rocsparse_index_base_b.has_dyn_sized_stack, 0
	.set _ZN9rocsparseL22bsrxmvn_general_kernelILj1024ELj32E21rocsparse_complex_numIfElifS2_S2_EEv20rocsparse_direction_NS_24const_host_device_scalarIT1_EET3_PKS7_PKT2_SC_S9_PKT4_S7_PKT5_S6_PT6_21rocsparse_index_base_b.has_recursion, 0
	.set _ZN9rocsparseL22bsrxmvn_general_kernelILj1024ELj32E21rocsparse_complex_numIfElifS2_S2_EEv20rocsparse_direction_NS_24const_host_device_scalarIT1_EET3_PKS7_PKT2_SC_S9_PKT4_S7_PKT5_S6_PT6_21rocsparse_index_base_b.has_indirect_call, 0
	.section	.AMDGPU.csdata,"",@progbits
; Kernel info:
; codeLenInByte = 1360
; TotalNumSgprs: 34
; NumVgprs: 29
; ScratchSize: 0
; MemoryBound: 0
; FloatMode: 240
; IeeeMode: 1
; LDSByteSize: 0 bytes/workgroup (compile time only)
; SGPRBlocks: 0
; VGPRBlocks: 3
; NumSGPRsForWavesPerEU: 34
; NumVGPRsForWavesPerEU: 29
; Occupancy: 16
; WaveLimiterHint : 1
; COMPUTE_PGM_RSRC2:SCRATCH_EN: 0
; COMPUTE_PGM_RSRC2:USER_SGPR: 6
; COMPUTE_PGM_RSRC2:TRAP_HANDLER: 0
; COMPUTE_PGM_RSRC2:TGID_X_EN: 1
; COMPUTE_PGM_RSRC2:TGID_Y_EN: 0
; COMPUTE_PGM_RSRC2:TGID_Z_EN: 0
; COMPUTE_PGM_RSRC2:TIDIG_COMP_CNT: 0
	.section	.text._ZN9rocsparseL22bsrxmvn_general_kernelILj64ELj8E21rocsparse_complex_numIfEllfS2_S2_EEv20rocsparse_direction_NS_24const_host_device_scalarIT1_EET3_PKS7_PKT2_SC_S9_PKT4_S7_PKT5_S6_PT6_21rocsparse_index_base_b,"axG",@progbits,_ZN9rocsparseL22bsrxmvn_general_kernelILj64ELj8E21rocsparse_complex_numIfEllfS2_S2_EEv20rocsparse_direction_NS_24const_host_device_scalarIT1_EET3_PKS7_PKT2_SC_S9_PKT4_S7_PKT5_S6_PT6_21rocsparse_index_base_b,comdat
	.globl	_ZN9rocsparseL22bsrxmvn_general_kernelILj64ELj8E21rocsparse_complex_numIfEllfS2_S2_EEv20rocsparse_direction_NS_24const_host_device_scalarIT1_EET3_PKS7_PKT2_SC_S9_PKT4_S7_PKT5_S6_PT6_21rocsparse_index_base_b ; -- Begin function _ZN9rocsparseL22bsrxmvn_general_kernelILj64ELj8E21rocsparse_complex_numIfEllfS2_S2_EEv20rocsparse_direction_NS_24const_host_device_scalarIT1_EET3_PKS7_PKT2_SC_S9_PKT4_S7_PKT5_S6_PT6_21rocsparse_index_base_b
	.p2align	8
	.type	_ZN9rocsparseL22bsrxmvn_general_kernelILj64ELj8E21rocsparse_complex_numIfEllfS2_S2_EEv20rocsparse_direction_NS_24const_host_device_scalarIT1_EET3_PKS7_PKT2_SC_S9_PKT4_S7_PKT5_S6_PT6_21rocsparse_index_base_b,@function
_ZN9rocsparseL22bsrxmvn_general_kernelILj64ELj8E21rocsparse_complex_numIfEllfS2_S2_EEv20rocsparse_direction_NS_24const_host_device_scalarIT1_EET3_PKS7_PKT2_SC_S9_PKT4_S7_PKT5_S6_PT6_21rocsparse_index_base_b: ; @_ZN9rocsparseL22bsrxmvn_general_kernelILj64ELj8E21rocsparse_complex_numIfEllfS2_S2_EEv20rocsparse_direction_NS_24const_host_device_scalarIT1_EET3_PKS7_PKT2_SC_S9_PKT4_S7_PKT5_S6_PT6_21rocsparse_index_base_b
; %bb.0:
	s_clause 0x2
	s_load_dwordx2 s[16:17], s[4:5], 0x60
	s_load_dwordx2 s[0:1], s[4:5], 0x8
	;; [unrolled: 1-line block ×3, first 2 shown]
	s_add_u32 s7, s4, 8
	s_addc_u32 s8, s5, 0
	s_add_u32 s9, s4, 0x50
	s_addc_u32 s10, s5, 0
	s_waitcnt lgkmcnt(0)
	s_bitcmp1_b32 s17, 0
	s_cselect_b32 s0, s7, s0
	s_cselect_b32 s1, s8, s1
	v_mov_b32_e32 v1, s0
	v_mov_b32_e32 v2, s1
	s_cselect_b32 s0, s9, s2
	s_cselect_b32 s1, s10, s3
	v_mov_b32_e32 v3, s0
	v_mov_b32_e32 v4, s1
	flat_load_dwordx2 v[1:2], v[1:2]
	flat_load_dwordx2 v[3:4], v[3:4]
	s_waitcnt vmcnt(1) lgkmcnt(1)
	v_cmp_eq_f32_e32 vcc_lo, 0, v1
	v_cmp_eq_f32_e64 s0, 0, v2
	s_and_b32 s2, vcc_lo, s0
	s_mov_b32 s0, -1
	s_and_saveexec_b32 s1, s2
	s_cbranch_execz .LBB78_2
; %bb.1:
	s_waitcnt vmcnt(0) lgkmcnt(0)
	v_cmp_neq_f32_e32 vcc_lo, 1.0, v3
	v_cmp_neq_f32_e64 s0, 0, v4
	s_or_b32 s0, vcc_lo, s0
	s_orn2_b32 s0, s0, exec_lo
.LBB78_2:
	s_or_b32 exec_lo, exec_lo, s1
	s_and_saveexec_b32 s1, s0
	s_cbranch_execz .LBB78_24
; %bb.3:
	s_load_dwordx2 s[0:1], s[4:5], 0x18
	s_mov_b32 s7, 0
	s_waitcnt lgkmcnt(0)
	s_cmp_eq_u64 s[0:1], 0
	s_cbranch_scc1 .LBB78_5
; %bb.4:
	s_lshl_b64 s[2:3], s[6:7], 3
	s_add_u32 s0, s0, s2
	s_addc_u32 s1, s1, s3
	s_load_dwordx2 s[0:1], s[0:1], 0x0
	s_waitcnt lgkmcnt(0)
	s_sub_u32 s6, s0, s16
	s_subb_u32 s7, s1, 0
.LBB78_5:
	s_load_dwordx2 s[18:19], s[4:5], 0x40
	v_lshrrev_b32_e32 v5, 3, v0
	v_mov_b32_e32 v6, 0
	s_waitcnt lgkmcnt(0)
	v_cmp_gt_i64_e32 vcc_lo, s[18:19], v[5:6]
	s_and_b32 exec_lo, exec_lo, vcc_lo
	s_cbranch_execz .LBB78_24
; %bb.6:
	s_load_dwordx8 s[8:15], s[4:5], 0x20
	s_lshl_b64 s[24:25], s[6:7], 3
	v_and_b32_e32 v7, 7, v0
	v_mbcnt_lo_u32_b32 v0, -1, 0
	s_load_dword s29, s[4:5], 0x0
	s_mul_i32 s30, s6, s19
	s_mul_hi_u32 s31, s6, s18
	s_mul_i32 s28, s6, s18
	v_xor_b32_e32 v9, 4, v0
	s_mul_i32 s33, s7, s18
	v_xor_b32_e32 v10, 2, v0
	v_xor_b32_e32 v11, 1, v0
	v_lshlrev_b32_e32 v12, 3, v7
	v_mov_b32_e32 v8, v6
	s_waitcnt vmcnt(0)
	v_cmp_eq_f32_e32 vcc_lo, 0, v3
	v_cmp_eq_f32_e64 s2, 0, v4
	s_mul_i32 s34, s18, s19
	s_mul_hi_u32 s35, s18, s18
	v_cmp_gt_u64_e64 s0, s[18:19], v[7:8]
	v_cmp_eq_u32_e64 s1, 7, v7
	s_waitcnt lgkmcnt(0)
	s_add_u32 s26, s8, s24
	s_addc_u32 s27, s9, s25
	s_mov_b32 s17, 0
	s_load_dwordx2 s[20:21], s[26:27], 0x0
	s_clause 0x1
	s_load_dwordx2 s[8:9], s[4:5], 0x58
	s_load_dwordx2 s[22:23], s[4:5], 0x48
	s_waitcnt lgkmcnt(0)
	s_sub_u32 s4, s20, s16
	s_subb_u32 s5, s21, 0
	s_add_u32 s3, s26, 8
	s_addc_u32 s6, s27, 0
	s_add_u32 s24, s10, s24
	s_addc_u32 s7, s11, s25
	s_cmp_eq_u64 s[10:11], 0
	s_mul_i32 s25, s18, s18
	s_cselect_b32 s7, s6, s7
	s_cselect_b32 s6, s3, s24
	v_cmp_gt_i32_e64 s3, 32, v9
	s_load_dwordx2 s[10:11], s[6:7], 0x0
	s_mul_i32 s6, s18, s5
	v_cndmask_b32_e64 v13, v0, v9, s3
	v_cmp_gt_i32_e64 s3, 32, v10
	v_cndmask_b32_e64 v14, v0, v10, s3
	v_cmp_gt_i32_e64 s3, 32, v11
	v_mad_u64_u32 v[9:10], null, s18, s4, v[5:6]
	v_lshlrev_b32_e32 v21, 2, v14
	v_cndmask_b32_e64 v11, v0, v11, s3
	s_mul_i32 s3, s19, s4
	v_lshlrev_b32_e32 v0, 2, v13
	v_mul_lo_u32 v14, s19, v9
	v_lshlrev_b32_e32 v22, 2, v11
	v_add3_u32 v11, s6, s3, v10
	v_add_co_u32 v12, s3, s22, v12
	v_add_co_ci_u32_e64 v13, null, s23, 0, s3
	s_waitcnt lgkmcnt(0)
	s_sub_u32 s6, s10, s16
	s_subb_u32 s7, s11, 0
	v_mad_u64_u32 v[9:10], null, s18, v9, 0
	v_mul_lo_u32 v15, s18, v11
	s_cmp_lg_u32 s29, 0
	v_add_co_u32 v11, s3, v12, 4
	v_add_co_ci_u32_e64 v12, null, 0, v13, s3
	s_cselect_b32 s3, -1, 0
	s_add_i32 s22, s31, s30
	v_cmp_lt_i64_e64 s20, s[20:21], s[10:11]
	s_add_i32 s29, s22, s33
	s_and_b32 s21, vcc_lo, s2
	s_lshl_b64 s[10:11], s[28:29], 3
	v_add3_u32 v10, v10, v15, v14
	s_add_u32 s22, s8, s10
	s_addc_u32 s23, s9, s11
	s_add_i32 s2, s35, s34
	s_lshl_b64 s[8:9], s[18:19], 3
	s_add_i32 s24, s2, s34
	s_branch .LBB78_8
.LBB78_7:                               ;   in Loop: Header=BB78_8 Depth=1
	s_or_b32 exec_lo, exec_lo, s2
	v_add_co_u32 v5, vcc_lo, v5, 8
	v_add_co_ci_u32_e64 v6, null, 0, v6, vcc_lo
	v_add_co_u32 v9, s2, v9, s8
	v_add_co_ci_u32_e64 v10, null, s9, v10, s2
	v_cmp_le_i64_e32 vcc_lo, s[18:19], v[5:6]
	s_or_b32 s17, vcc_lo, s17
	s_andn2_b32 exec_lo, exec_lo, s17
	s_cbranch_execz .LBB78_24
.LBB78_8:                               ; =>This Loop Header: Depth=1
                                        ;     Child Loop BB78_12 Depth 2
                                        ;       Child Loop BB78_15 Depth 3
	v_mov_b32_e32 v23, 0
	v_mov_b32_e32 v24, 0
	s_andn2_b32 vcc_lo, exec_lo, s20
	s_cbranch_vccnz .LBB78_19
; %bb.9:                                ;   in Loop: Header=BB78_8 Depth=1
	s_waitcnt lgkmcnt(1)
	v_mov_b32_e32 v14, v10
	v_mov_b32_e32 v23, 0
	;; [unrolled: 1-line block ×4, first 2 shown]
	s_mov_b64 s[10:11], s[4:5]
	s_branch .LBB78_12
.LBB78_10:                              ;   in Loop: Header=BB78_12 Depth=2
	s_or_b32 exec_lo, exec_lo, s28
.LBB78_11:                              ;   in Loop: Header=BB78_12 Depth=2
	s_or_b32 exec_lo, exec_lo, s26
	s_add_u32 s10, s10, 1
	s_addc_u32 s11, s11, 0
	v_add_co_u32 v13, vcc_lo, v13, s25
	v_cmp_ge_i64_e64 s2, s[10:11], s[6:7]
	v_add_co_ci_u32_e64 v14, null, s24, v14, vcc_lo
	s_and_b32 vcc_lo, exec_lo, s2
	s_cbranch_vccnz .LBB78_19
.LBB78_12:                              ;   Parent Loop BB78_8 Depth=1
                                        ; =>  This Loop Header: Depth=2
                                        ;       Child Loop BB78_15 Depth 3
	s_and_saveexec_b32 s26, s0
	s_cbranch_execz .LBB78_11
; %bb.13:                               ;   in Loop: Header=BB78_12 Depth=2
	s_lshl_b64 s[28:29], s[10:11], 3
	s_mul_i32 s27, s10, s19
	s_add_u32 s28, s12, s28
	s_addc_u32 s29, s13, s29
	v_mov_b32_e32 v18, v8
	s_load_dwordx2 s[28:29], s[28:29], 0x0
	v_mov_b32_e32 v17, v7
	s_mul_i32 s30, s11, s18
	s_waitcnt lgkmcnt(0)
	s_sub_u32 s2, s28, s16
	s_subb_u32 s29, s29, 0
	v_mad_u64_u32 v[15:16], null, s8, s2, v[11:12]
	s_mul_i32 s2, s9, s2
	s_mul_i32 s29, s8, s29
	s_mul_hi_u32 s28, s10, s18
	s_add_i32 s27, s28, s27
	s_mov_b32 s28, 0
	v_add3_u32 v16, s29, s2, v16
	s_add_i32 s27, s27, s30
	s_mul_i32 s29, s10, s18
	s_branch .LBB78_15
.LBB78_14:                              ;   in Loop: Header=BB78_15 Depth=3
	v_lshlrev_b64 v[19:20], 2, v[19:20]
	v_add_co_u32 v19, vcc_lo, s14, v19
	v_add_co_ci_u32_e64 v20, null, s15, v20, vcc_lo
	v_add_co_u32 v17, vcc_lo, v17, 8
	global_load_dwordx2 v[25:26], v[15:16], off offset:-4
	global_load_dword v19, v[19:20], off
	v_add_co_ci_u32_e64 v18, null, 0, v18, vcc_lo
	v_add_co_u32 v15, s2, v15, 64
	v_add_co_ci_u32_e64 v16, null, 0, v16, s2
	v_cmp_le_i64_e32 vcc_lo, s[18:19], v[17:18]
	s_or_b32 s28, vcc_lo, s28
	s_waitcnt vmcnt(1)
	v_fmac_f32_e32 v23, 0, v25
	s_waitcnt vmcnt(0)
	v_fmac_f32_e32 v24, v19, v25
	v_fmac_f32_e32 v23, v19, v26
	;; [unrolled: 1-line block ×3, first 2 shown]
	s_andn2_b32 exec_lo, exec_lo, s28
	s_cbranch_execz .LBB78_10
.LBB78_15:                              ;   Parent Loop BB78_8 Depth=1
                                        ;     Parent Loop BB78_12 Depth=2
                                        ; =>    This Inner Loop Header: Depth=3
	s_and_b32 vcc_lo, exec_lo, s3
	s_cbranch_vccz .LBB78_17
; %bb.16:                               ;   in Loop: Header=BB78_15 Depth=3
	v_add_co_u32 v19, vcc_lo, v17, s29
	v_add_co_ci_u32_e64 v20, null, s27, v18, vcc_lo
	v_mul_lo_u32 v25, v19, s19
	v_mul_lo_u32 v26, v20, s18
	v_mad_u64_u32 v[19:20], null, v19, s18, v[5:6]
	v_add3_u32 v20, v26, v20, v25
	s_cbranch_execnz .LBB78_14
	s_branch .LBB78_18
.LBB78_17:                              ;   in Loop: Header=BB78_15 Depth=3
                                        ; implicit-def: $vgpr19_vgpr20
.LBB78_18:                              ;   in Loop: Header=BB78_15 Depth=3
	v_add_co_u32 v19, vcc_lo, v13, v17
	v_add_co_ci_u32_e64 v20, null, v14, v18, vcc_lo
	s_branch .LBB78_14
.LBB78_19:                              ;   in Loop: Header=BB78_8 Depth=1
	ds_bpermute_b32 v13, v0, v24
	s_waitcnt lgkmcnt(2)
	ds_bpermute_b32 v14, v0, v23
	s_waitcnt lgkmcnt(1)
	v_add_f32_e32 v13, v24, v13
	s_waitcnt lgkmcnt(0)
	v_add_f32_e32 v14, v23, v14
	ds_bpermute_b32 v15, v21, v13
	ds_bpermute_b32 v16, v21, v14
	s_waitcnt lgkmcnt(1)
	v_add_f32_e32 v13, v13, v15
	s_waitcnt lgkmcnt(0)
	v_add_f32_e32 v15, v14, v16
	ds_bpermute_b32 v14, v22, v13
	ds_bpermute_b32 v16, v22, v15
	s_and_saveexec_b32 s2, s1
	s_cbranch_execz .LBB78_7
; %bb.20:                               ;   in Loop: Header=BB78_8 Depth=1
	s_waitcnt lgkmcnt(0)
	v_add_f32_e32 v15, v15, v16
	v_add_f32_e32 v17, v13, v14
	v_mul_f32_e64 v13, v15, -v2
	v_mul_f32_e32 v14, v1, v15
	v_lshlrev_b64 v[15:16], 3, v[5:6]
	v_fmac_f32_e32 v13, v1, v17
	v_fmac_f32_e32 v14, v2, v17
	s_and_saveexec_b32 s10, s21
	s_xor_b32 s10, exec_lo, s10
	s_cbranch_execz .LBB78_22
; %bb.21:                               ;   in Loop: Header=BB78_8 Depth=1
	v_add_co_u32 v15, vcc_lo, s22, v15
	v_add_co_ci_u32_e64 v16, null, s23, v16, vcc_lo
	global_store_dwordx2 v[15:16], v[13:14], off
                                        ; implicit-def: $vgpr15_vgpr16
                                        ; implicit-def: $vgpr13
.LBB78_22:                              ;   in Loop: Header=BB78_8 Depth=1
	s_andn2_saveexec_b32 s10, s10
	s_cbranch_execz .LBB78_7
; %bb.23:                               ;   in Loop: Header=BB78_8 Depth=1
	v_add_co_u32 v15, vcc_lo, s22, v15
	v_add_co_ci_u32_e64 v16, null, s23, v16, vcc_lo
	global_load_dwordx2 v[17:18], v[15:16], off
	s_waitcnt vmcnt(0)
	v_fmac_f32_e32 v13, v3, v17
	v_fmac_f32_e32 v14, v4, v17
	v_fma_f32 v13, -v4, v18, v13
	v_fmac_f32_e32 v14, v3, v18
	global_store_dwordx2 v[15:16], v[13:14], off
	s_branch .LBB78_7
.LBB78_24:
	s_endpgm
	.section	.rodata,"a",@progbits
	.p2align	6, 0x0
	.amdhsa_kernel _ZN9rocsparseL22bsrxmvn_general_kernelILj64ELj8E21rocsparse_complex_numIfEllfS2_S2_EEv20rocsparse_direction_NS_24const_host_device_scalarIT1_EET3_PKS7_PKT2_SC_S9_PKT4_S7_PKT5_S6_PT6_21rocsparse_index_base_b
		.amdhsa_group_segment_fixed_size 0
		.amdhsa_private_segment_fixed_size 0
		.amdhsa_kernarg_size 104
		.amdhsa_user_sgpr_count 6
		.amdhsa_user_sgpr_private_segment_buffer 1
		.amdhsa_user_sgpr_dispatch_ptr 0
		.amdhsa_user_sgpr_queue_ptr 0
		.amdhsa_user_sgpr_kernarg_segment_ptr 1
		.amdhsa_user_sgpr_dispatch_id 0
		.amdhsa_user_sgpr_flat_scratch_init 0
		.amdhsa_user_sgpr_private_segment_size 0
		.amdhsa_wavefront_size32 1
		.amdhsa_uses_dynamic_stack 0
		.amdhsa_system_sgpr_private_segment_wavefront_offset 0
		.amdhsa_system_sgpr_workgroup_id_x 1
		.amdhsa_system_sgpr_workgroup_id_y 0
		.amdhsa_system_sgpr_workgroup_id_z 0
		.amdhsa_system_sgpr_workgroup_info 0
		.amdhsa_system_vgpr_workitem_id 0
		.amdhsa_next_free_vgpr 27
		.amdhsa_next_free_sgpr 36
		.amdhsa_reserve_vcc 1
		.amdhsa_reserve_flat_scratch 0
		.amdhsa_float_round_mode_32 0
		.amdhsa_float_round_mode_16_64 0
		.amdhsa_float_denorm_mode_32 3
		.amdhsa_float_denorm_mode_16_64 3
		.amdhsa_dx10_clamp 1
		.amdhsa_ieee_mode 1
		.amdhsa_fp16_overflow 0
		.amdhsa_workgroup_processor_mode 1
		.amdhsa_memory_ordered 1
		.amdhsa_forward_progress 1
		.amdhsa_shared_vgpr_count 0
		.amdhsa_exception_fp_ieee_invalid_op 0
		.amdhsa_exception_fp_denorm_src 0
		.amdhsa_exception_fp_ieee_div_zero 0
		.amdhsa_exception_fp_ieee_overflow 0
		.amdhsa_exception_fp_ieee_underflow 0
		.amdhsa_exception_fp_ieee_inexact 0
		.amdhsa_exception_int_div_zero 0
	.end_amdhsa_kernel
	.section	.text._ZN9rocsparseL22bsrxmvn_general_kernelILj64ELj8E21rocsparse_complex_numIfEllfS2_S2_EEv20rocsparse_direction_NS_24const_host_device_scalarIT1_EET3_PKS7_PKT2_SC_S9_PKT4_S7_PKT5_S6_PT6_21rocsparse_index_base_b,"axG",@progbits,_ZN9rocsparseL22bsrxmvn_general_kernelILj64ELj8E21rocsparse_complex_numIfEllfS2_S2_EEv20rocsparse_direction_NS_24const_host_device_scalarIT1_EET3_PKS7_PKT2_SC_S9_PKT4_S7_PKT5_S6_PT6_21rocsparse_index_base_b,comdat
.Lfunc_end78:
	.size	_ZN9rocsparseL22bsrxmvn_general_kernelILj64ELj8E21rocsparse_complex_numIfEllfS2_S2_EEv20rocsparse_direction_NS_24const_host_device_scalarIT1_EET3_PKS7_PKT2_SC_S9_PKT4_S7_PKT5_S6_PT6_21rocsparse_index_base_b, .Lfunc_end78-_ZN9rocsparseL22bsrxmvn_general_kernelILj64ELj8E21rocsparse_complex_numIfEllfS2_S2_EEv20rocsparse_direction_NS_24const_host_device_scalarIT1_EET3_PKS7_PKT2_SC_S9_PKT4_S7_PKT5_S6_PT6_21rocsparse_index_base_b
                                        ; -- End function
	.set _ZN9rocsparseL22bsrxmvn_general_kernelILj64ELj8E21rocsparse_complex_numIfEllfS2_S2_EEv20rocsparse_direction_NS_24const_host_device_scalarIT1_EET3_PKS7_PKT2_SC_S9_PKT4_S7_PKT5_S6_PT6_21rocsparse_index_base_b.num_vgpr, 27
	.set _ZN9rocsparseL22bsrxmvn_general_kernelILj64ELj8E21rocsparse_complex_numIfEllfS2_S2_EEv20rocsparse_direction_NS_24const_host_device_scalarIT1_EET3_PKS7_PKT2_SC_S9_PKT4_S7_PKT5_S6_PT6_21rocsparse_index_base_b.num_agpr, 0
	.set _ZN9rocsparseL22bsrxmvn_general_kernelILj64ELj8E21rocsparse_complex_numIfEllfS2_S2_EEv20rocsparse_direction_NS_24const_host_device_scalarIT1_EET3_PKS7_PKT2_SC_S9_PKT4_S7_PKT5_S6_PT6_21rocsparse_index_base_b.numbered_sgpr, 36
	.set _ZN9rocsparseL22bsrxmvn_general_kernelILj64ELj8E21rocsparse_complex_numIfEllfS2_S2_EEv20rocsparse_direction_NS_24const_host_device_scalarIT1_EET3_PKS7_PKT2_SC_S9_PKT4_S7_PKT5_S6_PT6_21rocsparse_index_base_b.num_named_barrier, 0
	.set _ZN9rocsparseL22bsrxmvn_general_kernelILj64ELj8E21rocsparse_complex_numIfEllfS2_S2_EEv20rocsparse_direction_NS_24const_host_device_scalarIT1_EET3_PKS7_PKT2_SC_S9_PKT4_S7_PKT5_S6_PT6_21rocsparse_index_base_b.private_seg_size, 0
	.set _ZN9rocsparseL22bsrxmvn_general_kernelILj64ELj8E21rocsparse_complex_numIfEllfS2_S2_EEv20rocsparse_direction_NS_24const_host_device_scalarIT1_EET3_PKS7_PKT2_SC_S9_PKT4_S7_PKT5_S6_PT6_21rocsparse_index_base_b.uses_vcc, 1
	.set _ZN9rocsparseL22bsrxmvn_general_kernelILj64ELj8E21rocsparse_complex_numIfEllfS2_S2_EEv20rocsparse_direction_NS_24const_host_device_scalarIT1_EET3_PKS7_PKT2_SC_S9_PKT4_S7_PKT5_S6_PT6_21rocsparse_index_base_b.uses_flat_scratch, 0
	.set _ZN9rocsparseL22bsrxmvn_general_kernelILj64ELj8E21rocsparse_complex_numIfEllfS2_S2_EEv20rocsparse_direction_NS_24const_host_device_scalarIT1_EET3_PKS7_PKT2_SC_S9_PKT4_S7_PKT5_S6_PT6_21rocsparse_index_base_b.has_dyn_sized_stack, 0
	.set _ZN9rocsparseL22bsrxmvn_general_kernelILj64ELj8E21rocsparse_complex_numIfEllfS2_S2_EEv20rocsparse_direction_NS_24const_host_device_scalarIT1_EET3_PKS7_PKT2_SC_S9_PKT4_S7_PKT5_S6_PT6_21rocsparse_index_base_b.has_recursion, 0
	.set _ZN9rocsparseL22bsrxmvn_general_kernelILj64ELj8E21rocsparse_complex_numIfEllfS2_S2_EEv20rocsparse_direction_NS_24const_host_device_scalarIT1_EET3_PKS7_PKT2_SC_S9_PKT4_S7_PKT5_S6_PT6_21rocsparse_index_base_b.has_indirect_call, 0
	.section	.AMDGPU.csdata,"",@progbits
; Kernel info:
; codeLenInByte = 1368
; TotalNumSgprs: 38
; NumVgprs: 27
; ScratchSize: 0
; MemoryBound: 0
; FloatMode: 240
; IeeeMode: 1
; LDSByteSize: 0 bytes/workgroup (compile time only)
; SGPRBlocks: 0
; VGPRBlocks: 3
; NumSGPRsForWavesPerEU: 38
; NumVGPRsForWavesPerEU: 27
; Occupancy: 16
; WaveLimiterHint : 0
; COMPUTE_PGM_RSRC2:SCRATCH_EN: 0
; COMPUTE_PGM_RSRC2:USER_SGPR: 6
; COMPUTE_PGM_RSRC2:TRAP_HANDLER: 0
; COMPUTE_PGM_RSRC2:TGID_X_EN: 1
; COMPUTE_PGM_RSRC2:TGID_Y_EN: 0
; COMPUTE_PGM_RSRC2:TGID_Z_EN: 0
; COMPUTE_PGM_RSRC2:TIDIG_COMP_CNT: 0
	.section	.text._ZN9rocsparseL22bsrxmvn_general_kernelILj256ELj16E21rocsparse_complex_numIfEllfS2_S2_EEv20rocsparse_direction_NS_24const_host_device_scalarIT1_EET3_PKS7_PKT2_SC_S9_PKT4_S7_PKT5_S6_PT6_21rocsparse_index_base_b,"axG",@progbits,_ZN9rocsparseL22bsrxmvn_general_kernelILj256ELj16E21rocsparse_complex_numIfEllfS2_S2_EEv20rocsparse_direction_NS_24const_host_device_scalarIT1_EET3_PKS7_PKT2_SC_S9_PKT4_S7_PKT5_S6_PT6_21rocsparse_index_base_b,comdat
	.globl	_ZN9rocsparseL22bsrxmvn_general_kernelILj256ELj16E21rocsparse_complex_numIfEllfS2_S2_EEv20rocsparse_direction_NS_24const_host_device_scalarIT1_EET3_PKS7_PKT2_SC_S9_PKT4_S7_PKT5_S6_PT6_21rocsparse_index_base_b ; -- Begin function _ZN9rocsparseL22bsrxmvn_general_kernelILj256ELj16E21rocsparse_complex_numIfEllfS2_S2_EEv20rocsparse_direction_NS_24const_host_device_scalarIT1_EET3_PKS7_PKT2_SC_S9_PKT4_S7_PKT5_S6_PT6_21rocsparse_index_base_b
	.p2align	8
	.type	_ZN9rocsparseL22bsrxmvn_general_kernelILj256ELj16E21rocsparse_complex_numIfEllfS2_S2_EEv20rocsparse_direction_NS_24const_host_device_scalarIT1_EET3_PKS7_PKT2_SC_S9_PKT4_S7_PKT5_S6_PT6_21rocsparse_index_base_b,@function
_ZN9rocsparseL22bsrxmvn_general_kernelILj256ELj16E21rocsparse_complex_numIfEllfS2_S2_EEv20rocsparse_direction_NS_24const_host_device_scalarIT1_EET3_PKS7_PKT2_SC_S9_PKT4_S7_PKT5_S6_PT6_21rocsparse_index_base_b: ; @_ZN9rocsparseL22bsrxmvn_general_kernelILj256ELj16E21rocsparse_complex_numIfEllfS2_S2_EEv20rocsparse_direction_NS_24const_host_device_scalarIT1_EET3_PKS7_PKT2_SC_S9_PKT4_S7_PKT5_S6_PT6_21rocsparse_index_base_b
; %bb.0:
	s_clause 0x2
	s_load_dwordx2 s[16:17], s[4:5], 0x60
	s_load_dwordx2 s[0:1], s[4:5], 0x8
	;; [unrolled: 1-line block ×3, first 2 shown]
	s_add_u32 s7, s4, 8
	s_addc_u32 s8, s5, 0
	s_add_u32 s9, s4, 0x50
	s_addc_u32 s10, s5, 0
	s_waitcnt lgkmcnt(0)
	s_bitcmp1_b32 s17, 0
	s_cselect_b32 s0, s7, s0
	s_cselect_b32 s1, s8, s1
	v_mov_b32_e32 v1, s0
	v_mov_b32_e32 v2, s1
	s_cselect_b32 s0, s9, s2
	s_cselect_b32 s1, s10, s3
	v_mov_b32_e32 v3, s0
	v_mov_b32_e32 v4, s1
	flat_load_dwordx2 v[1:2], v[1:2]
	flat_load_dwordx2 v[3:4], v[3:4]
	s_waitcnt vmcnt(1) lgkmcnt(1)
	v_cmp_eq_f32_e32 vcc_lo, 0, v1
	v_cmp_eq_f32_e64 s0, 0, v2
	s_and_b32 s2, vcc_lo, s0
	s_mov_b32 s0, -1
	s_and_saveexec_b32 s1, s2
	s_cbranch_execz .LBB79_2
; %bb.1:
	s_waitcnt vmcnt(0) lgkmcnt(0)
	v_cmp_neq_f32_e32 vcc_lo, 1.0, v3
	v_cmp_neq_f32_e64 s0, 0, v4
	s_or_b32 s0, vcc_lo, s0
	s_orn2_b32 s0, s0, exec_lo
.LBB79_2:
	s_or_b32 exec_lo, exec_lo, s1
	s_and_saveexec_b32 s1, s0
	s_cbranch_execz .LBB79_24
; %bb.3:
	s_load_dwordx2 s[0:1], s[4:5], 0x18
	s_mov_b32 s7, 0
	s_waitcnt lgkmcnt(0)
	s_cmp_eq_u64 s[0:1], 0
	s_cbranch_scc1 .LBB79_5
; %bb.4:
	s_lshl_b64 s[2:3], s[6:7], 3
	s_add_u32 s0, s0, s2
	s_addc_u32 s1, s1, s3
	s_load_dwordx2 s[0:1], s[0:1], 0x0
	s_waitcnt lgkmcnt(0)
	s_sub_u32 s6, s0, s16
	s_subb_u32 s7, s1, 0
.LBB79_5:
	s_load_dwordx2 s[18:19], s[4:5], 0x40
	v_lshrrev_b32_e32 v5, 4, v0
	v_mov_b32_e32 v6, 0
	s_waitcnt lgkmcnt(0)
	v_cmp_gt_i64_e32 vcc_lo, s[18:19], v[5:6]
	s_and_b32 exec_lo, exec_lo, vcc_lo
	s_cbranch_execz .LBB79_24
; %bb.6:
	s_clause 0x2
	s_load_dwordx8 s[8:15], s[4:5], 0x20
	s_load_dwordx2 s[20:21], s[4:5], 0x58
	s_load_dwordx2 s[22:23], s[4:5], 0x48
	s_lshl_b64 s[24:25], s[6:7], 3
	v_and_b32_e32 v7, 15, v0
	v_mbcnt_lo_u32_b32 v0, -1, 0
	s_mul_i32 s30, s6, s19
	s_mul_hi_u32 s31, s6, s18
	s_mul_i32 s28, s6, s18
	s_mul_i32 s33, s7, s18
	v_xor_b32_e32 v9, 8, v0
	v_xor_b32_e32 v10, 4, v0
	;; [unrolled: 1-line block ×4, first 2 shown]
	v_lshlrev_b32_e32 v13, 3, v7
	v_cmp_gt_i32_e64 s3, 32, v9
	v_mov_b32_e32 v8, v6
	s_waitcnt vmcnt(0)
	v_cmp_eq_f32_e32 vcc_lo, 0, v3
	v_cmp_eq_f32_e64 s2, 0, v4
	s_mul_i32 s34, s18, s19
	s_waitcnt lgkmcnt(0)
	s_add_u32 s26, s8, s24
	s_addc_u32 s27, s9, s25
	s_load_dword s29, s[4:5], 0x0
	s_load_dwordx2 s[8:9], s[26:27], 0x0
	v_cndmask_b32_e64 v14, v0, v9, s3
	v_cmp_gt_i32_e64 s3, 32, v10
	s_mul_hi_u32 s35, s18, s18
	v_cmp_gt_u64_e64 s0, s[18:19], v[7:8]
	v_cmp_eq_u32_e64 s1, 15, v7
	s_mov_b32 s17, 0
	v_cndmask_b32_e64 v15, v0, v10, s3
	v_cmp_gt_i32_e64 s3, 32, v11
	v_lshlrev_b32_e32 v21, 2, v15
	v_cndmask_b32_e64 v11, v0, v11, s3
	v_cmp_gt_i32_e64 s3, 32, v12
	v_lshlrev_b32_e32 v22, 2, v11
	v_cndmask_b32_e64 v12, v0, v12, s3
	s_waitcnt lgkmcnt(0)
	s_sub_u32 s4, s8, s16
	s_subb_u32 s5, s9, 0
	s_add_u32 s6, s26, 8
	s_addc_u32 s7, s27, 0
	s_add_u32 s24, s10, s24
	s_addc_u32 s25, s11, s25
	s_cmp_eq_u64 s[10:11], 0
	v_mad_u64_u32 v[9:10], null, s18, s4, v[5:6]
	s_cselect_b32 s7, s7, s25
	s_cselect_b32 s6, s6, s24
	s_mul_i32 s3, s19, s4
	s_load_dwordx2 s[10:11], s[6:7], 0x0
	s_mul_i32 s6, s18, s5
	v_lshlrev_b32_e32 v23, 2, v12
	v_add3_u32 v11, s6, s3, v10
	v_add_co_u32 v12, s3, s22, v13
	v_add_co_ci_u32_e64 v13, null, s23, 0, s3
	v_lshlrev_b32_e32 v0, 2, v14
	v_mul_lo_u32 v14, s19, v9
	v_mad_u64_u32 v[9:10], null, s18, v9, 0
	v_mul_lo_u32 v15, s18, v11
	v_add_co_u32 v11, s3, v12, 4
	v_add_co_ci_u32_e64 v12, null, 0, v13, s3
	s_mul_i32 s27, s18, s18
	s_waitcnt lgkmcnt(0)
	s_sub_u32 s6, s10, s16
	s_subb_u32 s7, s11, 0
	s_cmp_lg_u32 s29, 0
	v_add3_u32 v10, v10, v15, v14
	s_cselect_b32 s3, -1, 0
	s_add_i32 s22, s31, s30
	s_and_b32 s23, vcc_lo, s2
	s_add_i32 s29, s22, s33
	v_cmp_lt_i64_e64 s22, s[8:9], s[10:11]
	s_lshl_b64 s[8:9], s[28:29], 3
	s_add_u32 s24, s20, s8
	s_addc_u32 s25, s21, s9
	s_add_i32 s2, s35, s34
	s_lshl_b64 s[8:9], s[18:19], 3
	s_lshl_b64 s[10:11], s[18:19], 4
	s_add_i32 s26, s2, s34
	s_branch .LBB79_8
.LBB79_7:                               ;   in Loop: Header=BB79_8 Depth=1
	s_or_b32 exec_lo, exec_lo, s2
	v_add_co_u32 v5, vcc_lo, v5, 16
	v_add_co_ci_u32_e64 v6, null, 0, v6, vcc_lo
	v_add_co_u32 v9, s2, v9, s10
	v_add_co_ci_u32_e64 v10, null, s11, v10, s2
	v_cmp_le_i64_e32 vcc_lo, s[18:19], v[5:6]
	s_or_b32 s17, vcc_lo, s17
	s_andn2_b32 exec_lo, exec_lo, s17
	s_cbranch_execz .LBB79_24
.LBB79_8:                               ; =>This Loop Header: Depth=1
                                        ;     Child Loop BB79_12 Depth 2
                                        ;       Child Loop BB79_15 Depth 3
	v_mov_b32_e32 v24, 0
	v_mov_b32_e32 v25, 0
	s_andn2_b32 vcc_lo, exec_lo, s22
	s_cbranch_vccnz .LBB79_19
; %bb.9:                                ;   in Loop: Header=BB79_8 Depth=1
	s_waitcnt lgkmcnt(1)
	v_mov_b32_e32 v14, v10
	v_mov_b32_e32 v24, 0
	;; [unrolled: 1-line block ×4, first 2 shown]
	s_mov_b64 s[20:21], s[4:5]
	s_branch .LBB79_12
.LBB79_10:                              ;   in Loop: Header=BB79_12 Depth=2
	s_or_b32 exec_lo, exec_lo, s30
.LBB79_11:                              ;   in Loop: Header=BB79_12 Depth=2
	s_or_b32 exec_lo, exec_lo, s28
	s_add_u32 s20, s20, 1
	s_addc_u32 s21, s21, 0
	v_add_co_u32 v13, vcc_lo, v13, s27
	v_cmp_ge_i64_e64 s2, s[20:21], s[6:7]
	v_add_co_ci_u32_e64 v14, null, s26, v14, vcc_lo
	s_and_b32 vcc_lo, exec_lo, s2
	s_cbranch_vccnz .LBB79_19
.LBB79_12:                              ;   Parent Loop BB79_8 Depth=1
                                        ; =>  This Loop Header: Depth=2
                                        ;       Child Loop BB79_15 Depth 3
	s_and_saveexec_b32 s28, s0
	s_cbranch_execz .LBB79_11
; %bb.13:                               ;   in Loop: Header=BB79_12 Depth=2
	s_lshl_b64 s[30:31], s[20:21], 3
	s_mul_i32 s29, s20, s19
	s_add_u32 s30, s12, s30
	s_addc_u32 s31, s13, s31
	v_mov_b32_e32 v18, v8
	s_load_dwordx2 s[30:31], s[30:31], 0x0
	v_mov_b32_e32 v17, v7
	s_mul_i32 s33, s21, s18
	s_waitcnt lgkmcnt(0)
	s_sub_u32 s2, s30, s16
	s_subb_u32 s31, s31, 0
	v_mad_u64_u32 v[15:16], null, s8, s2, v[11:12]
	s_mul_i32 s2, s9, s2
	s_mul_i32 s31, s8, s31
	s_mul_hi_u32 s30, s20, s18
	s_add_i32 s29, s30, s29
	s_mov_b32 s30, 0
	v_add3_u32 v16, s31, s2, v16
	s_add_i32 s29, s29, s33
	s_mul_i32 s31, s20, s18
	s_branch .LBB79_15
.LBB79_14:                              ;   in Loop: Header=BB79_15 Depth=3
	v_lshlrev_b64 v[19:20], 2, v[19:20]
	v_add_co_u32 v19, vcc_lo, s14, v19
	v_add_co_ci_u32_e64 v20, null, s15, v20, vcc_lo
	v_add_co_u32 v17, vcc_lo, v17, 16
	global_load_dwordx2 v[26:27], v[15:16], off offset:-4
	global_load_dword v19, v[19:20], off
	v_add_co_ci_u32_e64 v18, null, 0, v18, vcc_lo
	v_add_co_u32 v15, s2, 0x80, v15
	v_add_co_ci_u32_e64 v16, null, 0, v16, s2
	v_cmp_le_i64_e32 vcc_lo, s[18:19], v[17:18]
	s_or_b32 s30, vcc_lo, s30
	s_waitcnt vmcnt(1)
	v_fmac_f32_e32 v24, 0, v26
	s_waitcnt vmcnt(0)
	v_fmac_f32_e32 v25, v19, v26
	v_fmac_f32_e32 v24, v19, v27
	;; [unrolled: 1-line block ×3, first 2 shown]
	s_andn2_b32 exec_lo, exec_lo, s30
	s_cbranch_execz .LBB79_10
.LBB79_15:                              ;   Parent Loop BB79_8 Depth=1
                                        ;     Parent Loop BB79_12 Depth=2
                                        ; =>    This Inner Loop Header: Depth=3
	s_and_b32 vcc_lo, exec_lo, s3
	s_cbranch_vccz .LBB79_17
; %bb.16:                               ;   in Loop: Header=BB79_15 Depth=3
	v_add_co_u32 v19, vcc_lo, v17, s31
	v_add_co_ci_u32_e64 v20, null, s29, v18, vcc_lo
	v_mul_lo_u32 v26, v19, s19
	v_mul_lo_u32 v27, v20, s18
	v_mad_u64_u32 v[19:20], null, v19, s18, v[5:6]
	v_add3_u32 v20, v27, v20, v26
	s_cbranch_execnz .LBB79_14
	s_branch .LBB79_18
.LBB79_17:                              ;   in Loop: Header=BB79_15 Depth=3
                                        ; implicit-def: $vgpr19_vgpr20
.LBB79_18:                              ;   in Loop: Header=BB79_15 Depth=3
	v_add_co_u32 v19, vcc_lo, v13, v17
	v_add_co_ci_u32_e64 v20, null, v14, v18, vcc_lo
	s_branch .LBB79_14
.LBB79_19:                              ;   in Loop: Header=BB79_8 Depth=1
	ds_bpermute_b32 v13, v0, v25
	s_waitcnt lgkmcnt(2)
	ds_bpermute_b32 v14, v0, v24
	s_waitcnt lgkmcnt(1)
	v_add_f32_e32 v13, v25, v13
	s_waitcnt lgkmcnt(0)
	v_add_f32_e32 v14, v24, v14
	ds_bpermute_b32 v15, v21, v13
	ds_bpermute_b32 v16, v21, v14
	s_waitcnt lgkmcnt(1)
	v_add_f32_e32 v13, v13, v15
	s_waitcnt lgkmcnt(0)
	v_add_f32_e32 v14, v14, v16
	ds_bpermute_b32 v15, v22, v13
	;; [unrolled: 6-line block ×3, first 2 shown]
	ds_bpermute_b32 v16, v23, v15
	s_and_saveexec_b32 s2, s1
	s_cbranch_execz .LBB79_7
; %bb.20:                               ;   in Loop: Header=BB79_8 Depth=1
	s_waitcnt lgkmcnt(0)
	v_add_f32_e32 v15, v15, v16
	v_add_f32_e32 v17, v13, v14
	v_mul_f32_e64 v13, v15, -v2
	v_mul_f32_e32 v14, v1, v15
	v_lshlrev_b64 v[15:16], 3, v[5:6]
	v_fmac_f32_e32 v13, v1, v17
	v_fmac_f32_e32 v14, v2, v17
	s_and_saveexec_b32 s20, s23
	s_xor_b32 s20, exec_lo, s20
	s_cbranch_execz .LBB79_22
; %bb.21:                               ;   in Loop: Header=BB79_8 Depth=1
	v_add_co_u32 v15, vcc_lo, s24, v15
	v_add_co_ci_u32_e64 v16, null, s25, v16, vcc_lo
	global_store_dwordx2 v[15:16], v[13:14], off
                                        ; implicit-def: $vgpr15_vgpr16
                                        ; implicit-def: $vgpr13
.LBB79_22:                              ;   in Loop: Header=BB79_8 Depth=1
	s_andn2_saveexec_b32 s20, s20
	s_cbranch_execz .LBB79_7
; %bb.23:                               ;   in Loop: Header=BB79_8 Depth=1
	v_add_co_u32 v15, vcc_lo, s24, v15
	v_add_co_ci_u32_e64 v16, null, s25, v16, vcc_lo
	global_load_dwordx2 v[17:18], v[15:16], off
	s_waitcnt vmcnt(0)
	v_fmac_f32_e32 v13, v3, v17
	v_fmac_f32_e32 v14, v4, v17
	v_fma_f32 v13, -v4, v18, v13
	v_fmac_f32_e32 v14, v3, v18
	global_store_dwordx2 v[15:16], v[13:14], off
	s_branch .LBB79_7
.LBB79_24:
	s_endpgm
	.section	.rodata,"a",@progbits
	.p2align	6, 0x0
	.amdhsa_kernel _ZN9rocsparseL22bsrxmvn_general_kernelILj256ELj16E21rocsparse_complex_numIfEllfS2_S2_EEv20rocsparse_direction_NS_24const_host_device_scalarIT1_EET3_PKS7_PKT2_SC_S9_PKT4_S7_PKT5_S6_PT6_21rocsparse_index_base_b
		.amdhsa_group_segment_fixed_size 0
		.amdhsa_private_segment_fixed_size 0
		.amdhsa_kernarg_size 104
		.amdhsa_user_sgpr_count 6
		.amdhsa_user_sgpr_private_segment_buffer 1
		.amdhsa_user_sgpr_dispatch_ptr 0
		.amdhsa_user_sgpr_queue_ptr 0
		.amdhsa_user_sgpr_kernarg_segment_ptr 1
		.amdhsa_user_sgpr_dispatch_id 0
		.amdhsa_user_sgpr_flat_scratch_init 0
		.amdhsa_user_sgpr_private_segment_size 0
		.amdhsa_wavefront_size32 1
		.amdhsa_uses_dynamic_stack 0
		.amdhsa_system_sgpr_private_segment_wavefront_offset 0
		.amdhsa_system_sgpr_workgroup_id_x 1
		.amdhsa_system_sgpr_workgroup_id_y 0
		.amdhsa_system_sgpr_workgroup_id_z 0
		.amdhsa_system_sgpr_workgroup_info 0
		.amdhsa_system_vgpr_workitem_id 0
		.amdhsa_next_free_vgpr 28
		.amdhsa_next_free_sgpr 36
		.amdhsa_reserve_vcc 1
		.amdhsa_reserve_flat_scratch 0
		.amdhsa_float_round_mode_32 0
		.amdhsa_float_round_mode_16_64 0
		.amdhsa_float_denorm_mode_32 3
		.amdhsa_float_denorm_mode_16_64 3
		.amdhsa_dx10_clamp 1
		.amdhsa_ieee_mode 1
		.amdhsa_fp16_overflow 0
		.amdhsa_workgroup_processor_mode 1
		.amdhsa_memory_ordered 1
		.amdhsa_forward_progress 1
		.amdhsa_shared_vgpr_count 0
		.amdhsa_exception_fp_ieee_invalid_op 0
		.amdhsa_exception_fp_denorm_src 0
		.amdhsa_exception_fp_ieee_div_zero 0
		.amdhsa_exception_fp_ieee_overflow 0
		.amdhsa_exception_fp_ieee_underflow 0
		.amdhsa_exception_fp_ieee_inexact 0
		.amdhsa_exception_int_div_zero 0
	.end_amdhsa_kernel
	.section	.text._ZN9rocsparseL22bsrxmvn_general_kernelILj256ELj16E21rocsparse_complex_numIfEllfS2_S2_EEv20rocsparse_direction_NS_24const_host_device_scalarIT1_EET3_PKS7_PKT2_SC_S9_PKT4_S7_PKT5_S6_PT6_21rocsparse_index_base_b,"axG",@progbits,_ZN9rocsparseL22bsrxmvn_general_kernelILj256ELj16E21rocsparse_complex_numIfEllfS2_S2_EEv20rocsparse_direction_NS_24const_host_device_scalarIT1_EET3_PKS7_PKT2_SC_S9_PKT4_S7_PKT5_S6_PT6_21rocsparse_index_base_b,comdat
.Lfunc_end79:
	.size	_ZN9rocsparseL22bsrxmvn_general_kernelILj256ELj16E21rocsparse_complex_numIfEllfS2_S2_EEv20rocsparse_direction_NS_24const_host_device_scalarIT1_EET3_PKS7_PKT2_SC_S9_PKT4_S7_PKT5_S6_PT6_21rocsparse_index_base_b, .Lfunc_end79-_ZN9rocsparseL22bsrxmvn_general_kernelILj256ELj16E21rocsparse_complex_numIfEllfS2_S2_EEv20rocsparse_direction_NS_24const_host_device_scalarIT1_EET3_PKS7_PKT2_SC_S9_PKT4_S7_PKT5_S6_PT6_21rocsparse_index_base_b
                                        ; -- End function
	.set _ZN9rocsparseL22bsrxmvn_general_kernelILj256ELj16E21rocsparse_complex_numIfEllfS2_S2_EEv20rocsparse_direction_NS_24const_host_device_scalarIT1_EET3_PKS7_PKT2_SC_S9_PKT4_S7_PKT5_S6_PT6_21rocsparse_index_base_b.num_vgpr, 28
	.set _ZN9rocsparseL22bsrxmvn_general_kernelILj256ELj16E21rocsparse_complex_numIfEllfS2_S2_EEv20rocsparse_direction_NS_24const_host_device_scalarIT1_EET3_PKS7_PKT2_SC_S9_PKT4_S7_PKT5_S6_PT6_21rocsparse_index_base_b.num_agpr, 0
	.set _ZN9rocsparseL22bsrxmvn_general_kernelILj256ELj16E21rocsparse_complex_numIfEllfS2_S2_EEv20rocsparse_direction_NS_24const_host_device_scalarIT1_EET3_PKS7_PKT2_SC_S9_PKT4_S7_PKT5_S6_PT6_21rocsparse_index_base_b.numbered_sgpr, 36
	.set _ZN9rocsparseL22bsrxmvn_general_kernelILj256ELj16E21rocsparse_complex_numIfEllfS2_S2_EEv20rocsparse_direction_NS_24const_host_device_scalarIT1_EET3_PKS7_PKT2_SC_S9_PKT4_S7_PKT5_S6_PT6_21rocsparse_index_base_b.num_named_barrier, 0
	.set _ZN9rocsparseL22bsrxmvn_general_kernelILj256ELj16E21rocsparse_complex_numIfEllfS2_S2_EEv20rocsparse_direction_NS_24const_host_device_scalarIT1_EET3_PKS7_PKT2_SC_S9_PKT4_S7_PKT5_S6_PT6_21rocsparse_index_base_b.private_seg_size, 0
	.set _ZN9rocsparseL22bsrxmvn_general_kernelILj256ELj16E21rocsparse_complex_numIfEllfS2_S2_EEv20rocsparse_direction_NS_24const_host_device_scalarIT1_EET3_PKS7_PKT2_SC_S9_PKT4_S7_PKT5_S6_PT6_21rocsparse_index_base_b.uses_vcc, 1
	.set _ZN9rocsparseL22bsrxmvn_general_kernelILj256ELj16E21rocsparse_complex_numIfEllfS2_S2_EEv20rocsparse_direction_NS_24const_host_device_scalarIT1_EET3_PKS7_PKT2_SC_S9_PKT4_S7_PKT5_S6_PT6_21rocsparse_index_base_b.uses_flat_scratch, 0
	.set _ZN9rocsparseL22bsrxmvn_general_kernelILj256ELj16E21rocsparse_complex_numIfEllfS2_S2_EEv20rocsparse_direction_NS_24const_host_device_scalarIT1_EET3_PKS7_PKT2_SC_S9_PKT4_S7_PKT5_S6_PT6_21rocsparse_index_base_b.has_dyn_sized_stack, 0
	.set _ZN9rocsparseL22bsrxmvn_general_kernelILj256ELj16E21rocsparse_complex_numIfEllfS2_S2_EEv20rocsparse_direction_NS_24const_host_device_scalarIT1_EET3_PKS7_PKT2_SC_S9_PKT4_S7_PKT5_S6_PT6_21rocsparse_index_base_b.has_recursion, 0
	.set _ZN9rocsparseL22bsrxmvn_general_kernelILj256ELj16E21rocsparse_complex_numIfEllfS2_S2_EEv20rocsparse_direction_NS_24const_host_device_scalarIT1_EET3_PKS7_PKT2_SC_S9_PKT4_S7_PKT5_S6_PT6_21rocsparse_index_base_b.has_indirect_call, 0
	.section	.AMDGPU.csdata,"",@progbits
; Kernel info:
; codeLenInByte = 1432
; TotalNumSgprs: 38
; NumVgprs: 28
; ScratchSize: 0
; MemoryBound: 0
; FloatMode: 240
; IeeeMode: 1
; LDSByteSize: 0 bytes/workgroup (compile time only)
; SGPRBlocks: 0
; VGPRBlocks: 3
; NumSGPRsForWavesPerEU: 38
; NumVGPRsForWavesPerEU: 28
; Occupancy: 16
; WaveLimiterHint : 0
; COMPUTE_PGM_RSRC2:SCRATCH_EN: 0
; COMPUTE_PGM_RSRC2:USER_SGPR: 6
; COMPUTE_PGM_RSRC2:TRAP_HANDLER: 0
; COMPUTE_PGM_RSRC2:TGID_X_EN: 1
; COMPUTE_PGM_RSRC2:TGID_Y_EN: 0
; COMPUTE_PGM_RSRC2:TGID_Z_EN: 0
; COMPUTE_PGM_RSRC2:TIDIG_COMP_CNT: 0
	.section	.text._ZN9rocsparseL22bsrxmvn_general_kernelILj1024ELj32E21rocsparse_complex_numIfEllfS2_S2_EEv20rocsparse_direction_NS_24const_host_device_scalarIT1_EET3_PKS7_PKT2_SC_S9_PKT4_S7_PKT5_S6_PT6_21rocsparse_index_base_b,"axG",@progbits,_ZN9rocsparseL22bsrxmvn_general_kernelILj1024ELj32E21rocsparse_complex_numIfEllfS2_S2_EEv20rocsparse_direction_NS_24const_host_device_scalarIT1_EET3_PKS7_PKT2_SC_S9_PKT4_S7_PKT5_S6_PT6_21rocsparse_index_base_b,comdat
	.globl	_ZN9rocsparseL22bsrxmvn_general_kernelILj1024ELj32E21rocsparse_complex_numIfEllfS2_S2_EEv20rocsparse_direction_NS_24const_host_device_scalarIT1_EET3_PKS7_PKT2_SC_S9_PKT4_S7_PKT5_S6_PT6_21rocsparse_index_base_b ; -- Begin function _ZN9rocsparseL22bsrxmvn_general_kernelILj1024ELj32E21rocsparse_complex_numIfEllfS2_S2_EEv20rocsparse_direction_NS_24const_host_device_scalarIT1_EET3_PKS7_PKT2_SC_S9_PKT4_S7_PKT5_S6_PT6_21rocsparse_index_base_b
	.p2align	8
	.type	_ZN9rocsparseL22bsrxmvn_general_kernelILj1024ELj32E21rocsparse_complex_numIfEllfS2_S2_EEv20rocsparse_direction_NS_24const_host_device_scalarIT1_EET3_PKS7_PKT2_SC_S9_PKT4_S7_PKT5_S6_PT6_21rocsparse_index_base_b,@function
_ZN9rocsparseL22bsrxmvn_general_kernelILj1024ELj32E21rocsparse_complex_numIfEllfS2_S2_EEv20rocsparse_direction_NS_24const_host_device_scalarIT1_EET3_PKS7_PKT2_SC_S9_PKT4_S7_PKT5_S6_PT6_21rocsparse_index_base_b: ; @_ZN9rocsparseL22bsrxmvn_general_kernelILj1024ELj32E21rocsparse_complex_numIfEllfS2_S2_EEv20rocsparse_direction_NS_24const_host_device_scalarIT1_EET3_PKS7_PKT2_SC_S9_PKT4_S7_PKT5_S6_PT6_21rocsparse_index_base_b
; %bb.0:
	s_clause 0x2
	s_load_dwordx2 s[16:17], s[4:5], 0x60
	s_load_dwordx2 s[0:1], s[4:5], 0x8
	;; [unrolled: 1-line block ×3, first 2 shown]
	s_add_u32 s7, s4, 8
	s_addc_u32 s8, s5, 0
	s_add_u32 s9, s4, 0x50
	s_addc_u32 s10, s5, 0
	s_waitcnt lgkmcnt(0)
	s_bitcmp1_b32 s17, 0
	s_cselect_b32 s0, s7, s0
	s_cselect_b32 s1, s8, s1
	v_mov_b32_e32 v1, s0
	v_mov_b32_e32 v2, s1
	s_cselect_b32 s0, s9, s2
	s_cselect_b32 s1, s10, s3
	v_mov_b32_e32 v3, s0
	v_mov_b32_e32 v4, s1
	flat_load_dwordx2 v[1:2], v[1:2]
	flat_load_dwordx2 v[3:4], v[3:4]
	s_waitcnt vmcnt(1) lgkmcnt(1)
	v_cmp_eq_f32_e32 vcc_lo, 0, v1
	v_cmp_eq_f32_e64 s0, 0, v2
	s_and_b32 s2, vcc_lo, s0
	s_mov_b32 s0, -1
	s_and_saveexec_b32 s1, s2
	s_cbranch_execz .LBB80_2
; %bb.1:
	s_waitcnt vmcnt(0) lgkmcnt(0)
	v_cmp_neq_f32_e32 vcc_lo, 1.0, v3
	v_cmp_neq_f32_e64 s0, 0, v4
	s_or_b32 s0, vcc_lo, s0
	s_orn2_b32 s0, s0, exec_lo
.LBB80_2:
	s_or_b32 exec_lo, exec_lo, s1
	s_and_saveexec_b32 s1, s0
	s_cbranch_execz .LBB80_24
; %bb.3:
	s_load_dwordx2 s[0:1], s[4:5], 0x18
	s_mov_b32 s7, 0
	s_waitcnt lgkmcnt(0)
	s_cmp_eq_u64 s[0:1], 0
	s_cbranch_scc1 .LBB80_5
; %bb.4:
	s_lshl_b64 s[2:3], s[6:7], 3
	s_add_u32 s0, s0, s2
	s_addc_u32 s1, s1, s3
	s_load_dwordx2 s[0:1], s[0:1], 0x0
	s_waitcnt lgkmcnt(0)
	s_sub_u32 s6, s0, s16
	s_subb_u32 s7, s1, 0
.LBB80_5:
	s_load_dwordx2 s[18:19], s[4:5], 0x40
	v_lshrrev_b32_e32 v5, 5, v0
	v_mov_b32_e32 v6, 0
	s_waitcnt lgkmcnt(0)
	v_cmp_gt_i64_e32 vcc_lo, s[18:19], v[5:6]
	s_and_b32 exec_lo, exec_lo, vcc_lo
	s_cbranch_execz .LBB80_24
; %bb.6:
	s_clause 0x2
	s_load_dwordx8 s[8:15], s[4:5], 0x20
	s_load_dwordx2 s[20:21], s[4:5], 0x58
	s_load_dwordx2 s[22:23], s[4:5], 0x48
	s_lshl_b64 s[24:25], s[6:7], 3
	v_and_b32_e32 v7, 31, v0
	v_mbcnt_lo_u32_b32 v0, -1, 0
	s_load_dword s29, s[4:5], 0x0
	s_mul_i32 s30, s6, s19
	s_mul_hi_u32 s31, s6, s18
	s_mul_i32 s28, s6, s18
	v_xor_b32_e32 v9, 16, v0
	v_xor_b32_e32 v10, 8, v0
	s_mul_i32 s33, s7, s18
	v_xor_b32_e32 v11, 4, v0
	v_xor_b32_e32 v12, 2, v0
	v_cmp_gt_i32_e64 s3, 32, v9
	v_xor_b32_e32 v13, 1, v0
	v_lshlrev_b32_e32 v14, 3, v7
	v_mov_b32_e32 v8, v6
	s_waitcnt vmcnt(0)
	v_cmp_eq_f32_e32 vcc_lo, 0, v3
	s_waitcnt lgkmcnt(0)
	s_add_u32 s8, s8, s24
	s_addc_u32 s9, s9, s25
	v_cndmask_b32_e64 v15, v0, v9, s3
	s_load_dwordx2 s[26:27], s[8:9], 0x0
	v_cmp_gt_i32_e64 s3, 32, v10
	v_cmp_eq_f32_e64 s2, 0, v4
	s_mul_i32 s34, s18, s19
	s_mul_hi_u32 s35, s18, s18
	v_cmp_gt_u64_e64 s0, s[18:19], v[7:8]
	v_cndmask_b32_e64 v16, v0, v10, s3
	v_cmp_gt_i32_e64 s3, 32, v11
	v_cmp_eq_u32_e64 s1, 31, v7
	s_mov_b32 s17, 0
	v_lshlrev_b32_e32 v21, 2, v16
	v_cndmask_b32_e64 v11, v0, v11, s3
	v_cmp_gt_i32_e64 s3, 32, v12
	v_lshlrev_b32_e32 v22, 2, v11
	v_cndmask_b32_e64 v12, v0, v12, s3
	v_cmp_gt_i32_e64 s3, 32, v13
	s_waitcnt lgkmcnt(0)
	s_sub_u32 s4, s26, s16
	s_subb_u32 s5, s27, 0
	s_add_u32 s6, s8, 8
	s_addc_u32 s7, s9, 0
	s_add_u32 s8, s10, s24
	s_addc_u32 s9, s11, s25
	s_cmp_eq_u64 s[10:11], 0
	v_mad_u64_u32 v[9:10], null, s18, s4, v[5:6]
	s_cselect_b32 s7, s7, s9
	s_cselect_b32 s6, s6, s8
	v_cndmask_b32_e64 v13, v0, v13, s3
	s_load_dwordx2 s[8:9], s[6:7], 0x0
	s_mul_i32 s3, s19, s4
	s_mul_i32 s6, s18, s5
	v_lshlrev_b32_e32 v23, 2, v12
	v_add3_u32 v11, s6, s3, v10
	v_add_co_u32 v12, s3, s22, v14
	v_lshlrev_b32_e32 v24, 2, v13
	v_add_co_ci_u32_e64 v13, null, s23, 0, s3
	v_lshlrev_b32_e32 v0, 2, v15
	v_mul_lo_u32 v14, s19, v9
	v_mad_u64_u32 v[9:10], null, s18, v9, 0
	v_mul_lo_u32 v15, s18, v11
	v_add_co_u32 v11, s3, v12, 4
	v_add_co_ci_u32_e64 v12, null, 0, v13, s3
	s_waitcnt lgkmcnt(0)
	s_sub_u32 s6, s8, s16
	s_subb_u32 s7, s9, 0
	s_cmp_lg_u32 s29, 0
	v_cmp_lt_i64_e64 s22, s[26:27], s[8:9]
	s_cselect_b32 s3, -1, 0
	s_add_i32 s10, s31, s30
	s_and_b32 s23, vcc_lo, s2
	s_add_i32 s29, s10, s33
	v_add3_u32 v10, v10, v15, v14
	s_lshl_b64 s[8:9], s[28:29], 3
	s_mul_i32 s27, s18, s18
	s_add_u32 s24, s20, s8
	s_addc_u32 s25, s21, s9
	s_add_i32 s2, s35, s34
	s_lshl_b64 s[8:9], s[18:19], 3
	s_lshl_b64 s[10:11], s[18:19], 5
	s_add_i32 s26, s2, s34
	s_branch .LBB80_8
.LBB80_7:                               ;   in Loop: Header=BB80_8 Depth=1
	s_or_b32 exec_lo, exec_lo, s2
	v_add_co_u32 v5, vcc_lo, v5, 32
	v_add_co_ci_u32_e64 v6, null, 0, v6, vcc_lo
	v_add_co_u32 v9, s2, v9, s10
	v_add_co_ci_u32_e64 v10, null, s11, v10, s2
	v_cmp_le_i64_e32 vcc_lo, s[18:19], v[5:6]
	s_or_b32 s17, vcc_lo, s17
	s_andn2_b32 exec_lo, exec_lo, s17
	s_cbranch_execz .LBB80_24
.LBB80_8:                               ; =>This Loop Header: Depth=1
                                        ;     Child Loop BB80_12 Depth 2
                                        ;       Child Loop BB80_15 Depth 3
	v_mov_b32_e32 v25, 0
	v_mov_b32_e32 v26, 0
	s_andn2_b32 vcc_lo, exec_lo, s22
	s_cbranch_vccnz .LBB80_19
; %bb.9:                                ;   in Loop: Header=BB80_8 Depth=1
	s_waitcnt lgkmcnt(1)
	v_mov_b32_e32 v14, v10
	v_mov_b32_e32 v25, 0
	;; [unrolled: 1-line block ×4, first 2 shown]
	s_mov_b64 s[20:21], s[4:5]
	s_branch .LBB80_12
.LBB80_10:                              ;   in Loop: Header=BB80_12 Depth=2
	s_or_b32 exec_lo, exec_lo, s30
.LBB80_11:                              ;   in Loop: Header=BB80_12 Depth=2
	s_or_b32 exec_lo, exec_lo, s28
	s_add_u32 s20, s20, 1
	s_addc_u32 s21, s21, 0
	v_add_co_u32 v13, vcc_lo, v13, s27
	v_cmp_ge_i64_e64 s2, s[20:21], s[6:7]
	v_add_co_ci_u32_e64 v14, null, s26, v14, vcc_lo
	s_and_b32 vcc_lo, exec_lo, s2
	s_cbranch_vccnz .LBB80_19
.LBB80_12:                              ;   Parent Loop BB80_8 Depth=1
                                        ; =>  This Loop Header: Depth=2
                                        ;       Child Loop BB80_15 Depth 3
	s_and_saveexec_b32 s28, s0
	s_cbranch_execz .LBB80_11
; %bb.13:                               ;   in Loop: Header=BB80_12 Depth=2
	s_lshl_b64 s[30:31], s[20:21], 3
	s_mul_i32 s29, s20, s19
	s_add_u32 s30, s12, s30
	s_addc_u32 s31, s13, s31
	v_mov_b32_e32 v18, v8
	s_load_dwordx2 s[30:31], s[30:31], 0x0
	v_mov_b32_e32 v17, v7
	s_mul_i32 s33, s21, s18
	s_waitcnt lgkmcnt(0)
	s_sub_u32 s2, s30, s16
	s_subb_u32 s31, s31, 0
	v_mad_u64_u32 v[15:16], null, s8, s2, v[11:12]
	s_mul_i32 s2, s9, s2
	s_mul_i32 s31, s8, s31
	s_mul_hi_u32 s30, s20, s18
	s_add_i32 s29, s30, s29
	s_mov_b32 s30, 0
	v_add3_u32 v16, s31, s2, v16
	s_add_i32 s29, s29, s33
	s_mul_i32 s31, s20, s18
	s_branch .LBB80_15
.LBB80_14:                              ;   in Loop: Header=BB80_15 Depth=3
	v_lshlrev_b64 v[19:20], 2, v[19:20]
	v_add_co_u32 v19, vcc_lo, s14, v19
	v_add_co_ci_u32_e64 v20, null, s15, v20, vcc_lo
	v_add_co_u32 v17, vcc_lo, v17, 32
	global_load_dwordx2 v[27:28], v[15:16], off offset:-4
	global_load_dword v19, v[19:20], off
	v_add_co_ci_u32_e64 v18, null, 0, v18, vcc_lo
	v_add_co_u32 v15, s2, 0x100, v15
	v_add_co_ci_u32_e64 v16, null, 0, v16, s2
	v_cmp_le_i64_e32 vcc_lo, s[18:19], v[17:18]
	s_or_b32 s30, vcc_lo, s30
	s_waitcnt vmcnt(1)
	v_fmac_f32_e32 v25, 0, v27
	s_waitcnt vmcnt(0)
	v_fmac_f32_e32 v26, v19, v27
	v_fmac_f32_e32 v25, v19, v28
	;; [unrolled: 1-line block ×3, first 2 shown]
	s_andn2_b32 exec_lo, exec_lo, s30
	s_cbranch_execz .LBB80_10
.LBB80_15:                              ;   Parent Loop BB80_8 Depth=1
                                        ;     Parent Loop BB80_12 Depth=2
                                        ; =>    This Inner Loop Header: Depth=3
	s_and_b32 vcc_lo, exec_lo, s3
	s_cbranch_vccz .LBB80_17
; %bb.16:                               ;   in Loop: Header=BB80_15 Depth=3
	v_add_co_u32 v19, vcc_lo, v17, s31
	v_add_co_ci_u32_e64 v20, null, s29, v18, vcc_lo
	v_mul_lo_u32 v27, v19, s19
	v_mul_lo_u32 v28, v20, s18
	v_mad_u64_u32 v[19:20], null, v19, s18, v[5:6]
	v_add3_u32 v20, v28, v20, v27
	s_cbranch_execnz .LBB80_14
	s_branch .LBB80_18
.LBB80_17:                              ;   in Loop: Header=BB80_15 Depth=3
                                        ; implicit-def: $vgpr19_vgpr20
.LBB80_18:                              ;   in Loop: Header=BB80_15 Depth=3
	v_add_co_u32 v19, vcc_lo, v13, v17
	v_add_co_ci_u32_e64 v20, null, v14, v18, vcc_lo
	s_branch .LBB80_14
.LBB80_19:                              ;   in Loop: Header=BB80_8 Depth=1
	ds_bpermute_b32 v13, v0, v26
	s_waitcnt lgkmcnt(2)
	ds_bpermute_b32 v14, v0, v25
	s_waitcnt lgkmcnt(1)
	v_add_f32_e32 v13, v26, v13
	s_waitcnt lgkmcnt(0)
	v_add_f32_e32 v14, v25, v14
	ds_bpermute_b32 v15, v21, v13
	ds_bpermute_b32 v16, v21, v14
	s_waitcnt lgkmcnt(1)
	v_add_f32_e32 v13, v13, v15
	s_waitcnt lgkmcnt(0)
	v_add_f32_e32 v14, v14, v16
	ds_bpermute_b32 v15, v22, v13
	ds_bpermute_b32 v16, v22, v14
	s_waitcnt lgkmcnt(1)
	v_add_f32_e32 v13, v13, v15
	s_waitcnt lgkmcnt(0)
	v_add_f32_e32 v14, v14, v16
	ds_bpermute_b32 v15, v23, v13
	ds_bpermute_b32 v16, v23, v14
	s_waitcnt lgkmcnt(1)
	v_add_f32_e32 v13, v13, v15
	s_waitcnt lgkmcnt(0)
	v_add_f32_e32 v15, v14, v16
	ds_bpermute_b32 v14, v24, v13
	ds_bpermute_b32 v16, v24, v15
	s_and_saveexec_b32 s2, s1
	s_cbranch_execz .LBB80_7
; %bb.20:                               ;   in Loop: Header=BB80_8 Depth=1
	s_waitcnt lgkmcnt(0)
	v_add_f32_e32 v15, v15, v16
	v_add_f32_e32 v17, v13, v14
	v_mul_f32_e64 v13, v15, -v2
	v_mul_f32_e32 v14, v1, v15
	v_lshlrev_b64 v[15:16], 3, v[5:6]
	v_fmac_f32_e32 v13, v1, v17
	v_fmac_f32_e32 v14, v2, v17
	s_and_saveexec_b32 s20, s23
	s_xor_b32 s20, exec_lo, s20
	s_cbranch_execz .LBB80_22
; %bb.21:                               ;   in Loop: Header=BB80_8 Depth=1
	v_add_co_u32 v15, vcc_lo, s24, v15
	v_add_co_ci_u32_e64 v16, null, s25, v16, vcc_lo
	global_store_dwordx2 v[15:16], v[13:14], off
                                        ; implicit-def: $vgpr15_vgpr16
                                        ; implicit-def: $vgpr13
.LBB80_22:                              ;   in Loop: Header=BB80_8 Depth=1
	s_andn2_saveexec_b32 s20, s20
	s_cbranch_execz .LBB80_7
; %bb.23:                               ;   in Loop: Header=BB80_8 Depth=1
	v_add_co_u32 v15, vcc_lo, s24, v15
	v_add_co_ci_u32_e64 v16, null, s25, v16, vcc_lo
	global_load_dwordx2 v[17:18], v[15:16], off
	s_waitcnt vmcnt(0)
	v_fmac_f32_e32 v13, v3, v17
	v_fmac_f32_e32 v14, v4, v17
	v_fma_f32 v13, -v4, v18, v13
	v_fmac_f32_e32 v14, v3, v18
	global_store_dwordx2 v[15:16], v[13:14], off
	s_branch .LBB80_7
.LBB80_24:
	s_endpgm
	.section	.rodata,"a",@progbits
	.p2align	6, 0x0
	.amdhsa_kernel _ZN9rocsparseL22bsrxmvn_general_kernelILj1024ELj32E21rocsparse_complex_numIfEllfS2_S2_EEv20rocsparse_direction_NS_24const_host_device_scalarIT1_EET3_PKS7_PKT2_SC_S9_PKT4_S7_PKT5_S6_PT6_21rocsparse_index_base_b
		.amdhsa_group_segment_fixed_size 0
		.amdhsa_private_segment_fixed_size 0
		.amdhsa_kernarg_size 104
		.amdhsa_user_sgpr_count 6
		.amdhsa_user_sgpr_private_segment_buffer 1
		.amdhsa_user_sgpr_dispatch_ptr 0
		.amdhsa_user_sgpr_queue_ptr 0
		.amdhsa_user_sgpr_kernarg_segment_ptr 1
		.amdhsa_user_sgpr_dispatch_id 0
		.amdhsa_user_sgpr_flat_scratch_init 0
		.amdhsa_user_sgpr_private_segment_size 0
		.amdhsa_wavefront_size32 1
		.amdhsa_uses_dynamic_stack 0
		.amdhsa_system_sgpr_private_segment_wavefront_offset 0
		.amdhsa_system_sgpr_workgroup_id_x 1
		.amdhsa_system_sgpr_workgroup_id_y 0
		.amdhsa_system_sgpr_workgroup_id_z 0
		.amdhsa_system_sgpr_workgroup_info 0
		.amdhsa_system_vgpr_workitem_id 0
		.amdhsa_next_free_vgpr 29
		.amdhsa_next_free_sgpr 36
		.amdhsa_reserve_vcc 1
		.amdhsa_reserve_flat_scratch 0
		.amdhsa_float_round_mode_32 0
		.amdhsa_float_round_mode_16_64 0
		.amdhsa_float_denorm_mode_32 3
		.amdhsa_float_denorm_mode_16_64 3
		.amdhsa_dx10_clamp 1
		.amdhsa_ieee_mode 1
		.amdhsa_fp16_overflow 0
		.amdhsa_workgroup_processor_mode 1
		.amdhsa_memory_ordered 1
		.amdhsa_forward_progress 1
		.amdhsa_shared_vgpr_count 0
		.amdhsa_exception_fp_ieee_invalid_op 0
		.amdhsa_exception_fp_denorm_src 0
		.amdhsa_exception_fp_ieee_div_zero 0
		.amdhsa_exception_fp_ieee_overflow 0
		.amdhsa_exception_fp_ieee_underflow 0
		.amdhsa_exception_fp_ieee_inexact 0
		.amdhsa_exception_int_div_zero 0
	.end_amdhsa_kernel
	.section	.text._ZN9rocsparseL22bsrxmvn_general_kernelILj1024ELj32E21rocsparse_complex_numIfEllfS2_S2_EEv20rocsparse_direction_NS_24const_host_device_scalarIT1_EET3_PKS7_PKT2_SC_S9_PKT4_S7_PKT5_S6_PT6_21rocsparse_index_base_b,"axG",@progbits,_ZN9rocsparseL22bsrxmvn_general_kernelILj1024ELj32E21rocsparse_complex_numIfEllfS2_S2_EEv20rocsparse_direction_NS_24const_host_device_scalarIT1_EET3_PKS7_PKT2_SC_S9_PKT4_S7_PKT5_S6_PT6_21rocsparse_index_base_b,comdat
.Lfunc_end80:
	.size	_ZN9rocsparseL22bsrxmvn_general_kernelILj1024ELj32E21rocsparse_complex_numIfEllfS2_S2_EEv20rocsparse_direction_NS_24const_host_device_scalarIT1_EET3_PKS7_PKT2_SC_S9_PKT4_S7_PKT5_S6_PT6_21rocsparse_index_base_b, .Lfunc_end80-_ZN9rocsparseL22bsrxmvn_general_kernelILj1024ELj32E21rocsparse_complex_numIfEllfS2_S2_EEv20rocsparse_direction_NS_24const_host_device_scalarIT1_EET3_PKS7_PKT2_SC_S9_PKT4_S7_PKT5_S6_PT6_21rocsparse_index_base_b
                                        ; -- End function
	.set _ZN9rocsparseL22bsrxmvn_general_kernelILj1024ELj32E21rocsparse_complex_numIfEllfS2_S2_EEv20rocsparse_direction_NS_24const_host_device_scalarIT1_EET3_PKS7_PKT2_SC_S9_PKT4_S7_PKT5_S6_PT6_21rocsparse_index_base_b.num_vgpr, 29
	.set _ZN9rocsparseL22bsrxmvn_general_kernelILj1024ELj32E21rocsparse_complex_numIfEllfS2_S2_EEv20rocsparse_direction_NS_24const_host_device_scalarIT1_EET3_PKS7_PKT2_SC_S9_PKT4_S7_PKT5_S6_PT6_21rocsparse_index_base_b.num_agpr, 0
	.set _ZN9rocsparseL22bsrxmvn_general_kernelILj1024ELj32E21rocsparse_complex_numIfEllfS2_S2_EEv20rocsparse_direction_NS_24const_host_device_scalarIT1_EET3_PKS7_PKT2_SC_S9_PKT4_S7_PKT5_S6_PT6_21rocsparse_index_base_b.numbered_sgpr, 36
	.set _ZN9rocsparseL22bsrxmvn_general_kernelILj1024ELj32E21rocsparse_complex_numIfEllfS2_S2_EEv20rocsparse_direction_NS_24const_host_device_scalarIT1_EET3_PKS7_PKT2_SC_S9_PKT4_S7_PKT5_S6_PT6_21rocsparse_index_base_b.num_named_barrier, 0
	.set _ZN9rocsparseL22bsrxmvn_general_kernelILj1024ELj32E21rocsparse_complex_numIfEllfS2_S2_EEv20rocsparse_direction_NS_24const_host_device_scalarIT1_EET3_PKS7_PKT2_SC_S9_PKT4_S7_PKT5_S6_PT6_21rocsparse_index_base_b.private_seg_size, 0
	.set _ZN9rocsparseL22bsrxmvn_general_kernelILj1024ELj32E21rocsparse_complex_numIfEllfS2_S2_EEv20rocsparse_direction_NS_24const_host_device_scalarIT1_EET3_PKS7_PKT2_SC_S9_PKT4_S7_PKT5_S6_PT6_21rocsparse_index_base_b.uses_vcc, 1
	.set _ZN9rocsparseL22bsrxmvn_general_kernelILj1024ELj32E21rocsparse_complex_numIfEllfS2_S2_EEv20rocsparse_direction_NS_24const_host_device_scalarIT1_EET3_PKS7_PKT2_SC_S9_PKT4_S7_PKT5_S6_PT6_21rocsparse_index_base_b.uses_flat_scratch, 0
	.set _ZN9rocsparseL22bsrxmvn_general_kernelILj1024ELj32E21rocsparse_complex_numIfEllfS2_S2_EEv20rocsparse_direction_NS_24const_host_device_scalarIT1_EET3_PKS7_PKT2_SC_S9_PKT4_S7_PKT5_S6_PT6_21rocsparse_index_base_b.has_dyn_sized_stack, 0
	.set _ZN9rocsparseL22bsrxmvn_general_kernelILj1024ELj32E21rocsparse_complex_numIfEllfS2_S2_EEv20rocsparse_direction_NS_24const_host_device_scalarIT1_EET3_PKS7_PKT2_SC_S9_PKT4_S7_PKT5_S6_PT6_21rocsparse_index_base_b.has_recursion, 0
	.set _ZN9rocsparseL22bsrxmvn_general_kernelILj1024ELj32E21rocsparse_complex_numIfEllfS2_S2_EEv20rocsparse_direction_NS_24const_host_device_scalarIT1_EET3_PKS7_PKT2_SC_S9_PKT4_S7_PKT5_S6_PT6_21rocsparse_index_base_b.has_indirect_call, 0
	.section	.AMDGPU.csdata,"",@progbits
; Kernel info:
; codeLenInByte = 1488
; TotalNumSgprs: 38
; NumVgprs: 29
; ScratchSize: 0
; MemoryBound: 0
; FloatMode: 240
; IeeeMode: 1
; LDSByteSize: 0 bytes/workgroup (compile time only)
; SGPRBlocks: 0
; VGPRBlocks: 3
; NumSGPRsForWavesPerEU: 38
; NumVGPRsForWavesPerEU: 29
; Occupancy: 16
; WaveLimiterHint : 0
; COMPUTE_PGM_RSRC2:SCRATCH_EN: 0
; COMPUTE_PGM_RSRC2:USER_SGPR: 6
; COMPUTE_PGM_RSRC2:TRAP_HANDLER: 0
; COMPUTE_PGM_RSRC2:TGID_X_EN: 1
; COMPUTE_PGM_RSRC2:TGID_Y_EN: 0
; COMPUTE_PGM_RSRC2:TGID_Z_EN: 0
; COMPUTE_PGM_RSRC2:TIDIG_COMP_CNT: 0
	.section	.text._ZN9rocsparseL22bsrxmvn_general_kernelILj64ELj8EdiifddEEv20rocsparse_direction_NS_24const_host_device_scalarIT1_EET3_PKS5_PKT2_SA_S7_PKT4_S5_PKT5_S4_PT6_21rocsparse_index_base_b,"axG",@progbits,_ZN9rocsparseL22bsrxmvn_general_kernelILj64ELj8EdiifddEEv20rocsparse_direction_NS_24const_host_device_scalarIT1_EET3_PKS5_PKT2_SA_S7_PKT4_S5_PKT5_S4_PT6_21rocsparse_index_base_b,comdat
	.globl	_ZN9rocsparseL22bsrxmvn_general_kernelILj64ELj8EdiifddEEv20rocsparse_direction_NS_24const_host_device_scalarIT1_EET3_PKS5_PKT2_SA_S7_PKT4_S5_PKT5_S4_PT6_21rocsparse_index_base_b ; -- Begin function _ZN9rocsparseL22bsrxmvn_general_kernelILj64ELj8EdiifddEEv20rocsparse_direction_NS_24const_host_device_scalarIT1_EET3_PKS5_PKT2_SA_S7_PKT4_S5_PKT5_S4_PT6_21rocsparse_index_base_b
	.p2align	8
	.type	_ZN9rocsparseL22bsrxmvn_general_kernelILj64ELj8EdiifddEEv20rocsparse_direction_NS_24const_host_device_scalarIT1_EET3_PKS5_PKT2_SA_S7_PKT4_S5_PKT5_S4_PT6_21rocsparse_index_base_b,@function
_ZN9rocsparseL22bsrxmvn_general_kernelILj64ELj8EdiifddEEv20rocsparse_direction_NS_24const_host_device_scalarIT1_EET3_PKS5_PKT2_SA_S7_PKT4_S5_PKT5_S4_PT6_21rocsparse_index_base_b: ; @_ZN9rocsparseL22bsrxmvn_general_kernelILj64ELj8EdiifddEEv20rocsparse_direction_NS_24const_host_device_scalarIT1_EET3_PKS5_PKT2_SA_S7_PKT4_S5_PKT5_S4_PT6_21rocsparse_index_base_b
; %bb.0:
	s_clause 0x2
	s_load_dwordx2 s[16:17], s[4:5], 0x60
	s_load_dwordx2 s[2:3], s[4:5], 0x8
	;; [unrolled: 1-line block ×3, first 2 shown]
	s_waitcnt lgkmcnt(0)
	s_bitcmp1_b32 s17, 0
	v_mov_b32_e32 v1, s2
	v_mov_b32_e32 v2, s3
	s_cselect_b32 s7, -1, 0
	s_and_b32 vcc_lo, exec_lo, s7
	s_xor_b32 s7, s7, -1
	s_cbranch_vccnz .LBB81_2
; %bb.1:
	v_mov_b32_e32 v1, s2
	v_mov_b32_e32 v2, s3
	flat_load_dwordx2 v[1:2], v[1:2]
.LBB81_2:
	v_mov_b32_e32 v4, s1
	v_mov_b32_e32 v3, s0
	s_andn2_b32 vcc_lo, exec_lo, s7
	s_cbranch_vccnz .LBB81_4
; %bb.3:
	v_mov_b32_e32 v4, s1
	v_mov_b32_e32 v3, s0
	flat_load_dwordx2 v[3:4], v[3:4]
.LBB81_4:
	s_waitcnt vmcnt(0) lgkmcnt(0)
	v_cmp_neq_f64_e32 vcc_lo, 0, v[1:2]
	v_cmp_neq_f64_e64 s0, 1.0, v[3:4]
	s_or_b32 s0, vcc_lo, s0
	s_and_saveexec_b32 s1, s0
	s_cbranch_execz .LBB81_26
; %bb.5:
	s_load_dwordx2 s[0:1], s[4:5], 0x18
	s_waitcnt lgkmcnt(0)
	s_cmp_eq_u64 s[0:1], 0
	s_cbranch_scc1 .LBB81_7
; %bb.6:
	s_ashr_i32 s7, s6, 31
	s_lshl_b64 s[2:3], s[6:7], 2
	s_add_u32 s0, s0, s2
	s_addc_u32 s1, s1, s3
	s_load_dword s0, s[0:1], 0x0
	s_waitcnt lgkmcnt(0)
	s_sub_i32 s6, s0, s16
.LBB81_7:
	s_load_dword s3, s[4:5], 0x40
	v_lshrrev_b32_e32 v5, 3, v0
	s_waitcnt lgkmcnt(0)
	v_cmp_gt_i32_e32 vcc_lo, s3, v5
	s_and_b32 exec_lo, exec_lo, vcc_lo
	s_cbranch_execz .LBB81_26
; %bb.8:
	s_load_dwordx8 s[8:15], s[4:5], 0x20
	s_ashr_i32 s7, s6, 31
	s_load_dword s25, s[4:5], 0x0
	s_lshl_b64 s[0:1], s[6:7], 2
	v_mbcnt_lo_u32_b32 v8, -1, 0
	v_and_b32_e32 v7, 7, v0
	v_mov_b32_e32 v6, 0
	s_mul_hi_u32 s17, s3, s3
	s_mul_i32 s20, s3, s3
	v_xor_b32_e32 v9, 4, v8
	v_xor_b32_e32 v10, 2, v8
	;; [unrolled: 1-line block ×3, first 2 shown]
	v_mul_lo_u32 v0, s3, v5
	v_mul_lo_u32 v17, s3, v7
	v_cmp_gt_i32_e32 vcc_lo, 32, v9
	s_mov_b32 s7, 0
	s_mul_i32 s6, s6, s3
	v_cndmask_b32_e32 v9, v8, v9, vcc_lo
	s_waitcnt lgkmcnt(0)
	s_add_u32 s22, s8, s0
	s_addc_u32 s23, s9, s1
	v_cmp_gt_i32_e32 vcc_lo, 32, v10
	s_load_dword s24, s[22:23], 0x0
	s_clause 0x1
	s_load_dwordx2 s[8:9], s[4:5], 0x58
	s_load_dwordx2 s[18:19], s[4:5], 0x48
	v_lshlrev_b32_e32 v18, 2, v9
	v_cndmask_b32_e32 v10, v8, v10, vcc_lo
	v_cmp_gt_i32_e32 vcc_lo, 32, v11
	v_lshlrev_b32_e32 v19, 2, v10
	v_cndmask_b32_e32 v11, v8, v11, vcc_lo
	v_mov_b32_e32 v8, v6
	v_lshlrev_b32_e32 v20, 2, v11
	s_waitcnt lgkmcnt(0)
	s_sub_i32 s21, s24, s16
	s_add_u32 s2, s22, 4
	s_addc_u32 s4, s23, 0
	s_add_u32 s22, s10, s0
	s_addc_u32 s1, s11, s1
	s_cmp_eq_u64 s[10:11], 0
	v_cmp_eq_f64_e64 s0, 0, v[3:4]
	s_cselect_b32 s5, s4, s1
	s_cselect_b32 s4, s2, s22
	v_cmp_gt_u32_e64 s1, s3, v7
	s_load_dword s4, s[4:5], 0x0
	s_mul_i32 s5, s21, s17
	v_cmp_eq_u32_e64 s2, 7, v7
	s_waitcnt lgkmcnt(0)
	s_sub_i32 s10, s4, s16
	s_cmp_lt_i32 s24, s4
	s_mul_hi_u32 s4, s21, s20
	s_cselect_b32 s11, -1, 0
	s_cmp_lg_u32 s25, 0
	s_cselect_b32 s22, -1, 0
	s_ashr_i32 s23, s21, 31
	s_add_i32 s4, s4, s5
	s_mul_i32 s5, s23, s20
	s_mul_i32 s23, s21, s20
	s_add_i32 s24, s4, s5
	s_lshl_b32 s25, s3, 3
	s_branch .LBB81_10
.LBB81_9:                               ;   in Loop: Header=BB81_10 Depth=1
	s_or_b32 exec_lo, exec_lo, s4
	v_add_nc_u32_e32 v5, 8, v5
	v_add_nc_u32_e32 v0, s25, v0
	v_cmp_le_i32_e32 vcc_lo, s3, v5
	s_or_b32 s7, vcc_lo, s7
	s_andn2_b32 exec_lo, exec_lo, s7
	s_cbranch_execz .LBB81_26
.LBB81_10:                              ; =>This Loop Header: Depth=1
                                        ;     Child Loop BB81_14 Depth 2
                                        ;       Child Loop BB81_17 Depth 3
	v_mov_b32_e32 v9, 0
	v_mov_b32_e32 v10, 0
	s_andn2_b32 vcc_lo, exec_lo, s11
	s_cbranch_vccnz .LBB81_21
; %bb.11:                               ;   in Loop: Header=BB81_10 Depth=1
	s_waitcnt lgkmcnt(1)
	v_ashrrev_i32_e32 v11, 31, v0
	v_add_co_u32 v21, vcc_lo, s23, v0
	v_mov_b32_e32 v9, 0
	v_mov_b32_e32 v10, 0
	v_add_co_ci_u32_e64 v22, null, s24, v11, vcc_lo
	s_mov_b32 s4, s21
	s_branch .LBB81_14
.LBB81_12:                              ;   in Loop: Header=BB81_14 Depth=2
	s_or_b32 exec_lo, exec_lo, s5
.LBB81_13:                              ;   in Loop: Header=BB81_14 Depth=2
	s_or_b32 exec_lo, exec_lo, s26
	v_add_co_u32 v21, vcc_lo, v21, s20
	v_add_co_ci_u32_e64 v22, null, s17, v22, vcc_lo
	s_add_i32 s4, s4, 1
	s_cmp_ge_i32 s4, s10
	s_cbranch_scc1 .LBB81_21
.LBB81_14:                              ;   Parent Loop BB81_10 Depth=1
                                        ; =>  This Loop Header: Depth=2
                                        ;       Child Loop BB81_17 Depth 3
	s_and_saveexec_b32 s26, s1
	s_cbranch_execz .LBB81_13
; %bb.15:                               ;   in Loop: Header=BB81_14 Depth=2
	s_ashr_i32 s5, s4, 31
	s_waitcnt lgkmcnt(0)
	v_mad_u64_u32 v[11:12], null, s20, s4, v[5:6]
	s_lshl_b64 s[28:29], s[4:5], 2
	s_mul_i32 s5, s20, s5
	s_add_u32 s28, s12, s28
	s_addc_u32 s29, s13, s29
	v_mov_b32_e32 v14, v8
	s_load_dword s27, s[28:29], 0x0
	s_mul_i32 s28, s17, s4
	v_mov_b32_e32 v23, v17
	v_mov_b32_e32 v13, v7
	v_add3_u32 v12, s5, s28, v12
	s_waitcnt lgkmcnt(0)
	s_sub_i32 s5, s27, s16
	s_mul_i32 s27, s5, s3
	s_mov_b32 s5, 0
	s_branch .LBB81_17
.LBB81_16:                              ;   in Loop: Header=BB81_17 Depth=3
	v_lshlrev_b64 v[15:16], 2, v[15:16]
	v_add_nc_u32_e32 v24, s27, v13
	v_add_nc_u32_e32 v23, s25, v23
	v_ashrrev_i32_e32 v25, 31, v24
	v_add_co_u32 v15, vcc_lo, s14, v15
	v_add_co_ci_u32_e64 v16, null, s15, v16, vcc_lo
	global_load_dword v26, v[15:16], off
	v_lshlrev_b64 v[15:16], 3, v[24:25]
	v_add_co_u32 v15, vcc_lo, s18, v15
	v_add_co_ci_u32_e64 v16, null, s19, v16, vcc_lo
	v_add_co_u32 v13, vcc_lo, v13, 8
	v_add_co_ci_u32_e64 v14, null, 0, v14, vcc_lo
	global_load_dwordx2 v[15:16], v[15:16], off
	v_cmp_le_i32_e32 vcc_lo, s3, v13
	s_or_b32 s5, vcc_lo, s5
	s_waitcnt vmcnt(1)
	v_cvt_f64_f32_e32 v[24:25], v26
	s_waitcnt vmcnt(0)
	v_fma_f64 v[9:10], v[24:25], v[15:16], v[9:10]
	s_andn2_b32 exec_lo, exec_lo, s5
	s_cbranch_execz .LBB81_12
.LBB81_17:                              ;   Parent Loop BB81_10 Depth=1
                                        ;     Parent Loop BB81_14 Depth=2
                                        ; =>    This Inner Loop Header: Depth=3
	s_and_b32 vcc_lo, exec_lo, s22
	s_cbranch_vccz .LBB81_19
; %bb.18:                               ;   in Loop: Header=BB81_17 Depth=3
	v_ashrrev_i32_e32 v16, 31, v23
	v_add_co_u32 v15, vcc_lo, v11, v23
	v_add_co_ci_u32_e64 v16, null, v12, v16, vcc_lo
	s_cbranch_execnz .LBB81_16
	s_branch .LBB81_20
.LBB81_19:                              ;   in Loop: Header=BB81_17 Depth=3
                                        ; implicit-def: $vgpr15_vgpr16
.LBB81_20:                              ;   in Loop: Header=BB81_17 Depth=3
	v_add_co_u32 v15, vcc_lo, v21, v13
	v_add_co_ci_u32_e64 v16, null, v22, v14, vcc_lo
	s_branch .LBB81_16
.LBB81_21:                              ;   in Loop: Header=BB81_10 Depth=1
	s_waitcnt lgkmcnt(1)
	ds_bpermute_b32 v11, v18, v9
	s_waitcnt lgkmcnt(1)
	ds_bpermute_b32 v12, v18, v10
	s_waitcnt lgkmcnt(0)
	v_add_f64 v[9:10], v[9:10], v[11:12]
	ds_bpermute_b32 v11, v19, v9
	ds_bpermute_b32 v12, v19, v10
	s_waitcnt lgkmcnt(0)
	v_add_f64 v[9:10], v[9:10], v[11:12]
	ds_bpermute_b32 v11, v20, v9
	ds_bpermute_b32 v12, v20, v10
	s_and_saveexec_b32 s4, s2
	s_cbranch_execz .LBB81_9
; %bb.22:                               ;   in Loop: Header=BB81_10 Depth=1
	s_waitcnt lgkmcnt(0)
	v_add_f64 v[9:10], v[9:10], v[11:12]
	v_add_nc_u32_e32 v11, s6, v5
	v_ashrrev_i32_e32 v12, 31, v11
	v_mul_f64 v[9:10], v[1:2], v[9:10]
	s_and_saveexec_b32 s5, s0
	s_xor_b32 s5, exec_lo, s5
	s_cbranch_execz .LBB81_24
; %bb.23:                               ;   in Loop: Header=BB81_10 Depth=1
	v_lshlrev_b64 v[11:12], 3, v[11:12]
	v_add_co_u32 v11, vcc_lo, s8, v11
	v_add_co_ci_u32_e64 v12, null, s9, v12, vcc_lo
	global_store_dwordx2 v[11:12], v[9:10], off
                                        ; implicit-def: $vgpr11
                                        ; implicit-def: $vgpr9_vgpr10
.LBB81_24:                              ;   in Loop: Header=BB81_10 Depth=1
	s_andn2_saveexec_b32 s5, s5
	s_cbranch_execz .LBB81_9
; %bb.25:                               ;   in Loop: Header=BB81_10 Depth=1
	v_lshlrev_b64 v[11:12], 3, v[11:12]
	v_add_co_u32 v11, vcc_lo, s8, v11
	v_add_co_ci_u32_e64 v12, null, s9, v12, vcc_lo
	global_load_dwordx2 v[13:14], v[11:12], off
	s_waitcnt vmcnt(0)
	v_fma_f64 v[9:10], v[3:4], v[13:14], v[9:10]
	global_store_dwordx2 v[11:12], v[9:10], off
	s_branch .LBB81_9
.LBB81_26:
	s_endpgm
	.section	.rodata,"a",@progbits
	.p2align	6, 0x0
	.amdhsa_kernel _ZN9rocsparseL22bsrxmvn_general_kernelILj64ELj8EdiifddEEv20rocsparse_direction_NS_24const_host_device_scalarIT1_EET3_PKS5_PKT2_SA_S7_PKT4_S5_PKT5_S4_PT6_21rocsparse_index_base_b
		.amdhsa_group_segment_fixed_size 0
		.amdhsa_private_segment_fixed_size 0
		.amdhsa_kernarg_size 104
		.amdhsa_user_sgpr_count 6
		.amdhsa_user_sgpr_private_segment_buffer 1
		.amdhsa_user_sgpr_dispatch_ptr 0
		.amdhsa_user_sgpr_queue_ptr 0
		.amdhsa_user_sgpr_kernarg_segment_ptr 1
		.amdhsa_user_sgpr_dispatch_id 0
		.amdhsa_user_sgpr_flat_scratch_init 0
		.amdhsa_user_sgpr_private_segment_size 0
		.amdhsa_wavefront_size32 1
		.amdhsa_uses_dynamic_stack 0
		.amdhsa_system_sgpr_private_segment_wavefront_offset 0
		.amdhsa_system_sgpr_workgroup_id_x 1
		.amdhsa_system_sgpr_workgroup_id_y 0
		.amdhsa_system_sgpr_workgroup_id_z 0
		.amdhsa_system_sgpr_workgroup_info 0
		.amdhsa_system_vgpr_workitem_id 0
		.amdhsa_next_free_vgpr 27
		.amdhsa_next_free_sgpr 30
		.amdhsa_reserve_vcc 1
		.amdhsa_reserve_flat_scratch 0
		.amdhsa_float_round_mode_32 0
		.amdhsa_float_round_mode_16_64 0
		.amdhsa_float_denorm_mode_32 3
		.amdhsa_float_denorm_mode_16_64 3
		.amdhsa_dx10_clamp 1
		.amdhsa_ieee_mode 1
		.amdhsa_fp16_overflow 0
		.amdhsa_workgroup_processor_mode 1
		.amdhsa_memory_ordered 1
		.amdhsa_forward_progress 1
		.amdhsa_shared_vgpr_count 0
		.amdhsa_exception_fp_ieee_invalid_op 0
		.amdhsa_exception_fp_denorm_src 0
		.amdhsa_exception_fp_ieee_div_zero 0
		.amdhsa_exception_fp_ieee_overflow 0
		.amdhsa_exception_fp_ieee_underflow 0
		.amdhsa_exception_fp_ieee_inexact 0
		.amdhsa_exception_int_div_zero 0
	.end_amdhsa_kernel
	.section	.text._ZN9rocsparseL22bsrxmvn_general_kernelILj64ELj8EdiifddEEv20rocsparse_direction_NS_24const_host_device_scalarIT1_EET3_PKS5_PKT2_SA_S7_PKT4_S5_PKT5_S4_PT6_21rocsparse_index_base_b,"axG",@progbits,_ZN9rocsparseL22bsrxmvn_general_kernelILj64ELj8EdiifddEEv20rocsparse_direction_NS_24const_host_device_scalarIT1_EET3_PKS5_PKT2_SA_S7_PKT4_S5_PKT5_S4_PT6_21rocsparse_index_base_b,comdat
.Lfunc_end81:
	.size	_ZN9rocsparseL22bsrxmvn_general_kernelILj64ELj8EdiifddEEv20rocsparse_direction_NS_24const_host_device_scalarIT1_EET3_PKS5_PKT2_SA_S7_PKT4_S5_PKT5_S4_PT6_21rocsparse_index_base_b, .Lfunc_end81-_ZN9rocsparseL22bsrxmvn_general_kernelILj64ELj8EdiifddEEv20rocsparse_direction_NS_24const_host_device_scalarIT1_EET3_PKS5_PKT2_SA_S7_PKT4_S5_PKT5_S4_PT6_21rocsparse_index_base_b
                                        ; -- End function
	.set _ZN9rocsparseL22bsrxmvn_general_kernelILj64ELj8EdiifddEEv20rocsparse_direction_NS_24const_host_device_scalarIT1_EET3_PKS5_PKT2_SA_S7_PKT4_S5_PKT5_S4_PT6_21rocsparse_index_base_b.num_vgpr, 27
	.set _ZN9rocsparseL22bsrxmvn_general_kernelILj64ELj8EdiifddEEv20rocsparse_direction_NS_24const_host_device_scalarIT1_EET3_PKS5_PKT2_SA_S7_PKT4_S5_PKT5_S4_PT6_21rocsparse_index_base_b.num_agpr, 0
	.set _ZN9rocsparseL22bsrxmvn_general_kernelILj64ELj8EdiifddEEv20rocsparse_direction_NS_24const_host_device_scalarIT1_EET3_PKS5_PKT2_SA_S7_PKT4_S5_PKT5_S4_PT6_21rocsparse_index_base_b.numbered_sgpr, 30
	.set _ZN9rocsparseL22bsrxmvn_general_kernelILj64ELj8EdiifddEEv20rocsparse_direction_NS_24const_host_device_scalarIT1_EET3_PKS5_PKT2_SA_S7_PKT4_S5_PKT5_S4_PT6_21rocsparse_index_base_b.num_named_barrier, 0
	.set _ZN9rocsparseL22bsrxmvn_general_kernelILj64ELj8EdiifddEEv20rocsparse_direction_NS_24const_host_device_scalarIT1_EET3_PKS5_PKT2_SA_S7_PKT4_S5_PKT5_S4_PT6_21rocsparse_index_base_b.private_seg_size, 0
	.set _ZN9rocsparseL22bsrxmvn_general_kernelILj64ELj8EdiifddEEv20rocsparse_direction_NS_24const_host_device_scalarIT1_EET3_PKS5_PKT2_SA_S7_PKT4_S5_PKT5_S4_PT6_21rocsparse_index_base_b.uses_vcc, 1
	.set _ZN9rocsparseL22bsrxmvn_general_kernelILj64ELj8EdiifddEEv20rocsparse_direction_NS_24const_host_device_scalarIT1_EET3_PKS5_PKT2_SA_S7_PKT4_S5_PKT5_S4_PT6_21rocsparse_index_base_b.uses_flat_scratch, 0
	.set _ZN9rocsparseL22bsrxmvn_general_kernelILj64ELj8EdiifddEEv20rocsparse_direction_NS_24const_host_device_scalarIT1_EET3_PKS5_PKT2_SA_S7_PKT4_S5_PKT5_S4_PT6_21rocsparse_index_base_b.has_dyn_sized_stack, 0
	.set _ZN9rocsparseL22bsrxmvn_general_kernelILj64ELj8EdiifddEEv20rocsparse_direction_NS_24const_host_device_scalarIT1_EET3_PKS5_PKT2_SA_S7_PKT4_S5_PKT5_S4_PT6_21rocsparse_index_base_b.has_recursion, 0
	.set _ZN9rocsparseL22bsrxmvn_general_kernelILj64ELj8EdiifddEEv20rocsparse_direction_NS_24const_host_device_scalarIT1_EET3_PKS5_PKT2_SA_S7_PKT4_S5_PKT5_S4_PT6_21rocsparse_index_base_b.has_indirect_call, 0
	.section	.AMDGPU.csdata,"",@progbits
; Kernel info:
; codeLenInByte = 1132
; TotalNumSgprs: 32
; NumVgprs: 27
; ScratchSize: 0
; MemoryBound: 0
; FloatMode: 240
; IeeeMode: 1
; LDSByteSize: 0 bytes/workgroup (compile time only)
; SGPRBlocks: 0
; VGPRBlocks: 3
; NumSGPRsForWavesPerEU: 32
; NumVGPRsForWavesPerEU: 27
; Occupancy: 16
; WaveLimiterHint : 1
; COMPUTE_PGM_RSRC2:SCRATCH_EN: 0
; COMPUTE_PGM_RSRC2:USER_SGPR: 6
; COMPUTE_PGM_RSRC2:TRAP_HANDLER: 0
; COMPUTE_PGM_RSRC2:TGID_X_EN: 1
; COMPUTE_PGM_RSRC2:TGID_Y_EN: 0
; COMPUTE_PGM_RSRC2:TGID_Z_EN: 0
; COMPUTE_PGM_RSRC2:TIDIG_COMP_CNT: 0
	.section	.text._ZN9rocsparseL22bsrxmvn_general_kernelILj256ELj16EdiifddEEv20rocsparse_direction_NS_24const_host_device_scalarIT1_EET3_PKS5_PKT2_SA_S7_PKT4_S5_PKT5_S4_PT6_21rocsparse_index_base_b,"axG",@progbits,_ZN9rocsparseL22bsrxmvn_general_kernelILj256ELj16EdiifddEEv20rocsparse_direction_NS_24const_host_device_scalarIT1_EET3_PKS5_PKT2_SA_S7_PKT4_S5_PKT5_S4_PT6_21rocsparse_index_base_b,comdat
	.globl	_ZN9rocsparseL22bsrxmvn_general_kernelILj256ELj16EdiifddEEv20rocsparse_direction_NS_24const_host_device_scalarIT1_EET3_PKS5_PKT2_SA_S7_PKT4_S5_PKT5_S4_PT6_21rocsparse_index_base_b ; -- Begin function _ZN9rocsparseL22bsrxmvn_general_kernelILj256ELj16EdiifddEEv20rocsparse_direction_NS_24const_host_device_scalarIT1_EET3_PKS5_PKT2_SA_S7_PKT4_S5_PKT5_S4_PT6_21rocsparse_index_base_b
	.p2align	8
	.type	_ZN9rocsparseL22bsrxmvn_general_kernelILj256ELj16EdiifddEEv20rocsparse_direction_NS_24const_host_device_scalarIT1_EET3_PKS5_PKT2_SA_S7_PKT4_S5_PKT5_S4_PT6_21rocsparse_index_base_b,@function
_ZN9rocsparseL22bsrxmvn_general_kernelILj256ELj16EdiifddEEv20rocsparse_direction_NS_24const_host_device_scalarIT1_EET3_PKS5_PKT2_SA_S7_PKT4_S5_PKT5_S4_PT6_21rocsparse_index_base_b: ; @_ZN9rocsparseL22bsrxmvn_general_kernelILj256ELj16EdiifddEEv20rocsparse_direction_NS_24const_host_device_scalarIT1_EET3_PKS5_PKT2_SA_S7_PKT4_S5_PKT5_S4_PT6_21rocsparse_index_base_b
; %bb.0:
	s_clause 0x2
	s_load_dwordx2 s[16:17], s[4:5], 0x60
	s_load_dwordx2 s[2:3], s[4:5], 0x8
	;; [unrolled: 1-line block ×3, first 2 shown]
	s_waitcnt lgkmcnt(0)
	s_bitcmp1_b32 s17, 0
	v_mov_b32_e32 v1, s2
	v_mov_b32_e32 v2, s3
	s_cselect_b32 s7, -1, 0
	s_and_b32 vcc_lo, exec_lo, s7
	s_xor_b32 s7, s7, -1
	s_cbranch_vccnz .LBB82_2
; %bb.1:
	v_mov_b32_e32 v1, s2
	v_mov_b32_e32 v2, s3
	flat_load_dwordx2 v[1:2], v[1:2]
.LBB82_2:
	v_mov_b32_e32 v4, s1
	v_mov_b32_e32 v3, s0
	s_andn2_b32 vcc_lo, exec_lo, s7
	s_cbranch_vccnz .LBB82_4
; %bb.3:
	v_mov_b32_e32 v4, s1
	v_mov_b32_e32 v3, s0
	flat_load_dwordx2 v[3:4], v[3:4]
.LBB82_4:
	s_waitcnt vmcnt(0) lgkmcnt(0)
	v_cmp_neq_f64_e32 vcc_lo, 0, v[1:2]
	v_cmp_neq_f64_e64 s0, 1.0, v[3:4]
	s_or_b32 s0, vcc_lo, s0
	s_and_saveexec_b32 s1, s0
	s_cbranch_execz .LBB82_26
; %bb.5:
	s_load_dwordx2 s[0:1], s[4:5], 0x18
	s_waitcnt lgkmcnt(0)
	s_cmp_eq_u64 s[0:1], 0
	s_cbranch_scc1 .LBB82_7
; %bb.6:
	s_ashr_i32 s7, s6, 31
	s_lshl_b64 s[2:3], s[6:7], 2
	s_add_u32 s0, s0, s2
	s_addc_u32 s1, s1, s3
	s_load_dword s0, s[0:1], 0x0
	s_waitcnt lgkmcnt(0)
	s_sub_i32 s6, s0, s16
.LBB82_7:
	s_load_dword s3, s[4:5], 0x40
	v_lshrrev_b32_e32 v5, 4, v0
	s_waitcnt lgkmcnt(0)
	v_cmp_gt_i32_e32 vcc_lo, s3, v5
	s_and_b32 exec_lo, exec_lo, vcc_lo
	s_cbranch_execz .LBB82_26
; %bb.8:
	s_load_dwordx8 s[8:15], s[4:5], 0x20
	s_ashr_i32 s7, s6, 31
	v_mbcnt_lo_u32_b32 v9, -1, 0
	s_lshl_b64 s[22:23], s[6:7], 2
	s_load_dword s27, s[4:5], 0x0
	v_cmp_eq_f64_e64 s0, 0, v[3:4]
	v_and_b32_e32 v7, 15, v0
	v_xor_b32_e32 v10, 8, v9
	v_xor_b32_e32 v11, 4, v9
	;; [unrolled: 1-line block ×4, first 2 shown]
	v_mov_b32_e32 v6, 0
	v_cmp_gt_i32_e32 vcc_lo, 32, v10
	s_mul_hi_u32 s17, s3, s3
	s_mul_i32 s20, s3, s3
	v_mul_lo_u32 v0, s3, v5
	v_mul_lo_u32 v17, s3, v7
	v_cndmask_b32_e32 v10, v9, v10, vcc_lo
	v_cmp_gt_i32_e32 vcc_lo, 32, v11
	v_cmp_gt_u32_e64 s1, s3, v7
	s_waitcnt lgkmcnt(0)
	s_add_u32 s24, s8, s22
	s_addc_u32 s25, s9, s23
	v_mov_b32_e32 v8, v6
	s_load_dword s26, s[24:25], 0x0
	s_clause 0x1
	s_load_dwordx2 s[8:9], s[4:5], 0x58
	s_load_dwordx2 s[18:19], s[4:5], 0x48
	v_cndmask_b32_e32 v11, v9, v11, vcc_lo
	v_cmp_gt_i32_e32 vcc_lo, 32, v12
	v_lshlrev_b32_e32 v18, 2, v10
	s_mov_b32 s7, 0
	s_mul_i32 s6, s6, s3
	v_lshlrev_b32_e32 v19, 2, v11
	v_cndmask_b32_e32 v12, v9, v12, vcc_lo
	v_cmp_gt_i32_e32 vcc_lo, 32, v13
	v_lshlrev_b32_e32 v20, 2, v12
	v_cndmask_b32_e32 v9, v9, v13, vcc_lo
	v_lshlrev_b32_e32 v21, 2, v9
	s_waitcnt lgkmcnt(0)
	s_sub_i32 s21, s26, s16
	s_add_u32 s2, s24, 4
	s_addc_u32 s4, s25, 0
	s_add_u32 s22, s10, s22
	s_addc_u32 s5, s11, s23
	s_cmp_eq_u64 s[10:11], 0
	s_cselect_b32 s5, s4, s5
	s_cselect_b32 s4, s2, s22
	v_cmp_eq_u32_e64 s2, 15, v7
	s_load_dword s4, s[4:5], 0x0
	s_mul_i32 s5, s21, s17
	s_waitcnt lgkmcnt(0)
	s_sub_i32 s10, s4, s16
	s_cmp_lt_i32 s26, s4
	s_mul_hi_u32 s4, s21, s20
	s_cselect_b32 s11, -1, 0
	s_cmp_lg_u32 s27, 0
	s_cselect_b32 s22, -1, 0
	s_ashr_i32 s23, s21, 31
	s_add_i32 s4, s4, s5
	s_mul_i32 s5, s23, s20
	s_mul_i32 s23, s21, s20
	s_add_i32 s24, s4, s5
	s_lshl_b32 s25, s3, 4
	s_branch .LBB82_10
.LBB82_9:                               ;   in Loop: Header=BB82_10 Depth=1
	s_or_b32 exec_lo, exec_lo, s4
	v_add_nc_u32_e32 v5, 16, v5
	v_add_nc_u32_e32 v0, s25, v0
	v_cmp_le_i32_e32 vcc_lo, s3, v5
	s_or_b32 s7, vcc_lo, s7
	s_andn2_b32 exec_lo, exec_lo, s7
	s_cbranch_execz .LBB82_26
.LBB82_10:                              ; =>This Loop Header: Depth=1
                                        ;     Child Loop BB82_14 Depth 2
                                        ;       Child Loop BB82_17 Depth 3
	v_mov_b32_e32 v9, 0
	v_mov_b32_e32 v10, 0
	s_andn2_b32 vcc_lo, exec_lo, s11
	s_cbranch_vccnz .LBB82_21
; %bb.11:                               ;   in Loop: Header=BB82_10 Depth=1
	s_waitcnt lgkmcnt(1)
	v_ashrrev_i32_e32 v11, 31, v0
	v_add_co_u32 v22, vcc_lo, s23, v0
	v_mov_b32_e32 v9, 0
	v_mov_b32_e32 v10, 0
	v_add_co_ci_u32_e64 v23, null, s24, v11, vcc_lo
	s_mov_b32 s4, s21
	s_branch .LBB82_14
.LBB82_12:                              ;   in Loop: Header=BB82_14 Depth=2
	s_or_b32 exec_lo, exec_lo, s5
.LBB82_13:                              ;   in Loop: Header=BB82_14 Depth=2
	s_or_b32 exec_lo, exec_lo, s26
	v_add_co_u32 v22, vcc_lo, v22, s20
	v_add_co_ci_u32_e64 v23, null, s17, v23, vcc_lo
	s_add_i32 s4, s4, 1
	s_cmp_ge_i32 s4, s10
	s_cbranch_scc1 .LBB82_21
.LBB82_14:                              ;   Parent Loop BB82_10 Depth=1
                                        ; =>  This Loop Header: Depth=2
                                        ;       Child Loop BB82_17 Depth 3
	s_and_saveexec_b32 s26, s1
	s_cbranch_execz .LBB82_13
; %bb.15:                               ;   in Loop: Header=BB82_14 Depth=2
	s_ashr_i32 s5, s4, 31
	s_waitcnt lgkmcnt(0)
	v_mad_u64_u32 v[11:12], null, s20, s4, v[5:6]
	s_lshl_b64 s[28:29], s[4:5], 2
	s_mul_i32 s5, s20, s5
	s_add_u32 s28, s12, s28
	s_addc_u32 s29, s13, s29
	v_mov_b32_e32 v14, v8
	s_load_dword s27, s[28:29], 0x0
	s_mul_i32 s28, s17, s4
	v_mov_b32_e32 v24, v17
	v_mov_b32_e32 v13, v7
	v_add3_u32 v12, s5, s28, v12
	s_waitcnt lgkmcnt(0)
	s_sub_i32 s5, s27, s16
	s_mul_i32 s27, s5, s3
	s_mov_b32 s5, 0
	s_branch .LBB82_17
.LBB82_16:                              ;   in Loop: Header=BB82_17 Depth=3
	v_lshlrev_b64 v[15:16], 2, v[15:16]
	v_add_nc_u32_e32 v25, s27, v13
	v_add_nc_u32_e32 v24, s25, v24
	v_ashrrev_i32_e32 v26, 31, v25
	v_add_co_u32 v15, vcc_lo, s14, v15
	v_add_co_ci_u32_e64 v16, null, s15, v16, vcc_lo
	global_load_dword v27, v[15:16], off
	v_lshlrev_b64 v[15:16], 3, v[25:26]
	v_add_co_u32 v15, vcc_lo, s18, v15
	v_add_co_ci_u32_e64 v16, null, s19, v16, vcc_lo
	v_add_co_u32 v13, vcc_lo, v13, 16
	v_add_co_ci_u32_e64 v14, null, 0, v14, vcc_lo
	global_load_dwordx2 v[15:16], v[15:16], off
	v_cmp_le_i32_e32 vcc_lo, s3, v13
	s_or_b32 s5, vcc_lo, s5
	s_waitcnt vmcnt(1)
	v_cvt_f64_f32_e32 v[25:26], v27
	s_waitcnt vmcnt(0)
	v_fma_f64 v[9:10], v[25:26], v[15:16], v[9:10]
	s_andn2_b32 exec_lo, exec_lo, s5
	s_cbranch_execz .LBB82_12
.LBB82_17:                              ;   Parent Loop BB82_10 Depth=1
                                        ;     Parent Loop BB82_14 Depth=2
                                        ; =>    This Inner Loop Header: Depth=3
	s_and_b32 vcc_lo, exec_lo, s22
	s_cbranch_vccz .LBB82_19
; %bb.18:                               ;   in Loop: Header=BB82_17 Depth=3
	v_ashrrev_i32_e32 v16, 31, v24
	v_add_co_u32 v15, vcc_lo, v11, v24
	v_add_co_ci_u32_e64 v16, null, v12, v16, vcc_lo
	s_cbranch_execnz .LBB82_16
	s_branch .LBB82_20
.LBB82_19:                              ;   in Loop: Header=BB82_17 Depth=3
                                        ; implicit-def: $vgpr15_vgpr16
.LBB82_20:                              ;   in Loop: Header=BB82_17 Depth=3
	v_add_co_u32 v15, vcc_lo, v22, v13
	v_add_co_ci_u32_e64 v16, null, v23, v14, vcc_lo
	s_branch .LBB82_16
.LBB82_21:                              ;   in Loop: Header=BB82_10 Depth=1
	s_waitcnt lgkmcnt(1)
	ds_bpermute_b32 v11, v18, v9
	s_waitcnt lgkmcnt(1)
	ds_bpermute_b32 v12, v18, v10
	s_waitcnt lgkmcnt(0)
	v_add_f64 v[9:10], v[9:10], v[11:12]
	ds_bpermute_b32 v11, v19, v9
	ds_bpermute_b32 v12, v19, v10
	s_waitcnt lgkmcnt(0)
	v_add_f64 v[9:10], v[9:10], v[11:12]
	ds_bpermute_b32 v11, v20, v9
	;; [unrolled: 4-line block ×3, first 2 shown]
	ds_bpermute_b32 v12, v21, v10
	s_and_saveexec_b32 s4, s2
	s_cbranch_execz .LBB82_9
; %bb.22:                               ;   in Loop: Header=BB82_10 Depth=1
	s_waitcnt lgkmcnt(0)
	v_add_f64 v[9:10], v[9:10], v[11:12]
	v_add_nc_u32_e32 v11, s6, v5
	v_ashrrev_i32_e32 v12, 31, v11
	v_mul_f64 v[9:10], v[1:2], v[9:10]
	s_and_saveexec_b32 s5, s0
	s_xor_b32 s5, exec_lo, s5
	s_cbranch_execz .LBB82_24
; %bb.23:                               ;   in Loop: Header=BB82_10 Depth=1
	v_lshlrev_b64 v[11:12], 3, v[11:12]
	v_add_co_u32 v11, vcc_lo, s8, v11
	v_add_co_ci_u32_e64 v12, null, s9, v12, vcc_lo
	global_store_dwordx2 v[11:12], v[9:10], off
                                        ; implicit-def: $vgpr11
                                        ; implicit-def: $vgpr9_vgpr10
.LBB82_24:                              ;   in Loop: Header=BB82_10 Depth=1
	s_andn2_saveexec_b32 s5, s5
	s_cbranch_execz .LBB82_9
; %bb.25:                               ;   in Loop: Header=BB82_10 Depth=1
	v_lshlrev_b64 v[11:12], 3, v[11:12]
	v_add_co_u32 v11, vcc_lo, s8, v11
	v_add_co_ci_u32_e64 v12, null, s9, v12, vcc_lo
	global_load_dwordx2 v[13:14], v[11:12], off
	s_waitcnt vmcnt(0)
	v_fma_f64 v[9:10], v[3:4], v[13:14], v[9:10]
	global_store_dwordx2 v[11:12], v[9:10], off
	s_branch .LBB82_9
.LBB82_26:
	s_endpgm
	.section	.rodata,"a",@progbits
	.p2align	6, 0x0
	.amdhsa_kernel _ZN9rocsparseL22bsrxmvn_general_kernelILj256ELj16EdiifddEEv20rocsparse_direction_NS_24const_host_device_scalarIT1_EET3_PKS5_PKT2_SA_S7_PKT4_S5_PKT5_S4_PT6_21rocsparse_index_base_b
		.amdhsa_group_segment_fixed_size 0
		.amdhsa_private_segment_fixed_size 0
		.amdhsa_kernarg_size 104
		.amdhsa_user_sgpr_count 6
		.amdhsa_user_sgpr_private_segment_buffer 1
		.amdhsa_user_sgpr_dispatch_ptr 0
		.amdhsa_user_sgpr_queue_ptr 0
		.amdhsa_user_sgpr_kernarg_segment_ptr 1
		.amdhsa_user_sgpr_dispatch_id 0
		.amdhsa_user_sgpr_flat_scratch_init 0
		.amdhsa_user_sgpr_private_segment_size 0
		.amdhsa_wavefront_size32 1
		.amdhsa_uses_dynamic_stack 0
		.amdhsa_system_sgpr_private_segment_wavefront_offset 0
		.amdhsa_system_sgpr_workgroup_id_x 1
		.amdhsa_system_sgpr_workgroup_id_y 0
		.amdhsa_system_sgpr_workgroup_id_z 0
		.amdhsa_system_sgpr_workgroup_info 0
		.amdhsa_system_vgpr_workitem_id 0
		.amdhsa_next_free_vgpr 28
		.amdhsa_next_free_sgpr 30
		.amdhsa_reserve_vcc 1
		.amdhsa_reserve_flat_scratch 0
		.amdhsa_float_round_mode_32 0
		.amdhsa_float_round_mode_16_64 0
		.amdhsa_float_denorm_mode_32 3
		.amdhsa_float_denorm_mode_16_64 3
		.amdhsa_dx10_clamp 1
		.amdhsa_ieee_mode 1
		.amdhsa_fp16_overflow 0
		.amdhsa_workgroup_processor_mode 1
		.amdhsa_memory_ordered 1
		.amdhsa_forward_progress 1
		.amdhsa_shared_vgpr_count 0
		.amdhsa_exception_fp_ieee_invalid_op 0
		.amdhsa_exception_fp_denorm_src 0
		.amdhsa_exception_fp_ieee_div_zero 0
		.amdhsa_exception_fp_ieee_overflow 0
		.amdhsa_exception_fp_ieee_underflow 0
		.amdhsa_exception_fp_ieee_inexact 0
		.amdhsa_exception_int_div_zero 0
	.end_amdhsa_kernel
	.section	.text._ZN9rocsparseL22bsrxmvn_general_kernelILj256ELj16EdiifddEEv20rocsparse_direction_NS_24const_host_device_scalarIT1_EET3_PKS5_PKT2_SA_S7_PKT4_S5_PKT5_S4_PT6_21rocsparse_index_base_b,"axG",@progbits,_ZN9rocsparseL22bsrxmvn_general_kernelILj256ELj16EdiifddEEv20rocsparse_direction_NS_24const_host_device_scalarIT1_EET3_PKS5_PKT2_SA_S7_PKT4_S5_PKT5_S4_PT6_21rocsparse_index_base_b,comdat
.Lfunc_end82:
	.size	_ZN9rocsparseL22bsrxmvn_general_kernelILj256ELj16EdiifddEEv20rocsparse_direction_NS_24const_host_device_scalarIT1_EET3_PKS5_PKT2_SA_S7_PKT4_S5_PKT5_S4_PT6_21rocsparse_index_base_b, .Lfunc_end82-_ZN9rocsparseL22bsrxmvn_general_kernelILj256ELj16EdiifddEEv20rocsparse_direction_NS_24const_host_device_scalarIT1_EET3_PKS5_PKT2_SA_S7_PKT4_S5_PKT5_S4_PT6_21rocsparse_index_base_b
                                        ; -- End function
	.set _ZN9rocsparseL22bsrxmvn_general_kernelILj256ELj16EdiifddEEv20rocsparse_direction_NS_24const_host_device_scalarIT1_EET3_PKS5_PKT2_SA_S7_PKT4_S5_PKT5_S4_PT6_21rocsparse_index_base_b.num_vgpr, 28
	.set _ZN9rocsparseL22bsrxmvn_general_kernelILj256ELj16EdiifddEEv20rocsparse_direction_NS_24const_host_device_scalarIT1_EET3_PKS5_PKT2_SA_S7_PKT4_S5_PKT5_S4_PT6_21rocsparse_index_base_b.num_agpr, 0
	.set _ZN9rocsparseL22bsrxmvn_general_kernelILj256ELj16EdiifddEEv20rocsparse_direction_NS_24const_host_device_scalarIT1_EET3_PKS5_PKT2_SA_S7_PKT4_S5_PKT5_S4_PT6_21rocsparse_index_base_b.numbered_sgpr, 30
	.set _ZN9rocsparseL22bsrxmvn_general_kernelILj256ELj16EdiifddEEv20rocsparse_direction_NS_24const_host_device_scalarIT1_EET3_PKS5_PKT2_SA_S7_PKT4_S5_PKT5_S4_PT6_21rocsparse_index_base_b.num_named_barrier, 0
	.set _ZN9rocsparseL22bsrxmvn_general_kernelILj256ELj16EdiifddEEv20rocsparse_direction_NS_24const_host_device_scalarIT1_EET3_PKS5_PKT2_SA_S7_PKT4_S5_PKT5_S4_PT6_21rocsparse_index_base_b.private_seg_size, 0
	.set _ZN9rocsparseL22bsrxmvn_general_kernelILj256ELj16EdiifddEEv20rocsparse_direction_NS_24const_host_device_scalarIT1_EET3_PKS5_PKT2_SA_S7_PKT4_S5_PKT5_S4_PT6_21rocsparse_index_base_b.uses_vcc, 1
	.set _ZN9rocsparseL22bsrxmvn_general_kernelILj256ELj16EdiifddEEv20rocsparse_direction_NS_24const_host_device_scalarIT1_EET3_PKS5_PKT2_SA_S7_PKT4_S5_PKT5_S4_PT6_21rocsparse_index_base_b.uses_flat_scratch, 0
	.set _ZN9rocsparseL22bsrxmvn_general_kernelILj256ELj16EdiifddEEv20rocsparse_direction_NS_24const_host_device_scalarIT1_EET3_PKS5_PKT2_SA_S7_PKT4_S5_PKT5_S4_PT6_21rocsparse_index_base_b.has_dyn_sized_stack, 0
	.set _ZN9rocsparseL22bsrxmvn_general_kernelILj256ELj16EdiifddEEv20rocsparse_direction_NS_24const_host_device_scalarIT1_EET3_PKS5_PKT2_SA_S7_PKT4_S5_PKT5_S4_PT6_21rocsparse_index_base_b.has_recursion, 0
	.set _ZN9rocsparseL22bsrxmvn_general_kernelILj256ELj16EdiifddEEv20rocsparse_direction_NS_24const_host_device_scalarIT1_EET3_PKS5_PKT2_SA_S7_PKT4_S5_PKT5_S4_PT6_21rocsparse_index_base_b.has_indirect_call, 0
	.section	.AMDGPU.csdata,"",@progbits
; Kernel info:
; codeLenInByte = 1176
; TotalNumSgprs: 32
; NumVgprs: 28
; ScratchSize: 0
; MemoryBound: 0
; FloatMode: 240
; IeeeMode: 1
; LDSByteSize: 0 bytes/workgroup (compile time only)
; SGPRBlocks: 0
; VGPRBlocks: 3
; NumSGPRsForWavesPerEU: 32
; NumVGPRsForWavesPerEU: 28
; Occupancy: 16
; WaveLimiterHint : 1
; COMPUTE_PGM_RSRC2:SCRATCH_EN: 0
; COMPUTE_PGM_RSRC2:USER_SGPR: 6
; COMPUTE_PGM_RSRC2:TRAP_HANDLER: 0
; COMPUTE_PGM_RSRC2:TGID_X_EN: 1
; COMPUTE_PGM_RSRC2:TGID_Y_EN: 0
; COMPUTE_PGM_RSRC2:TGID_Z_EN: 0
; COMPUTE_PGM_RSRC2:TIDIG_COMP_CNT: 0
	.section	.text._ZN9rocsparseL22bsrxmvn_general_kernelILj1024ELj32EdiifddEEv20rocsparse_direction_NS_24const_host_device_scalarIT1_EET3_PKS5_PKT2_SA_S7_PKT4_S5_PKT5_S4_PT6_21rocsparse_index_base_b,"axG",@progbits,_ZN9rocsparseL22bsrxmvn_general_kernelILj1024ELj32EdiifddEEv20rocsparse_direction_NS_24const_host_device_scalarIT1_EET3_PKS5_PKT2_SA_S7_PKT4_S5_PKT5_S4_PT6_21rocsparse_index_base_b,comdat
	.globl	_ZN9rocsparseL22bsrxmvn_general_kernelILj1024ELj32EdiifddEEv20rocsparse_direction_NS_24const_host_device_scalarIT1_EET3_PKS5_PKT2_SA_S7_PKT4_S5_PKT5_S4_PT6_21rocsparse_index_base_b ; -- Begin function _ZN9rocsparseL22bsrxmvn_general_kernelILj1024ELj32EdiifddEEv20rocsparse_direction_NS_24const_host_device_scalarIT1_EET3_PKS5_PKT2_SA_S7_PKT4_S5_PKT5_S4_PT6_21rocsparse_index_base_b
	.p2align	8
	.type	_ZN9rocsparseL22bsrxmvn_general_kernelILj1024ELj32EdiifddEEv20rocsparse_direction_NS_24const_host_device_scalarIT1_EET3_PKS5_PKT2_SA_S7_PKT4_S5_PKT5_S4_PT6_21rocsparse_index_base_b,@function
_ZN9rocsparseL22bsrxmvn_general_kernelILj1024ELj32EdiifddEEv20rocsparse_direction_NS_24const_host_device_scalarIT1_EET3_PKS5_PKT2_SA_S7_PKT4_S5_PKT5_S4_PT6_21rocsparse_index_base_b: ; @_ZN9rocsparseL22bsrxmvn_general_kernelILj1024ELj32EdiifddEEv20rocsparse_direction_NS_24const_host_device_scalarIT1_EET3_PKS5_PKT2_SA_S7_PKT4_S5_PKT5_S4_PT6_21rocsparse_index_base_b
; %bb.0:
	s_clause 0x2
	s_load_dwordx2 s[16:17], s[4:5], 0x60
	s_load_dwordx2 s[2:3], s[4:5], 0x8
	;; [unrolled: 1-line block ×3, first 2 shown]
	s_waitcnt lgkmcnt(0)
	s_bitcmp1_b32 s17, 0
	v_mov_b32_e32 v1, s2
	v_mov_b32_e32 v2, s3
	s_cselect_b32 s7, -1, 0
	s_and_b32 vcc_lo, exec_lo, s7
	s_xor_b32 s7, s7, -1
	s_cbranch_vccnz .LBB83_2
; %bb.1:
	v_mov_b32_e32 v1, s2
	v_mov_b32_e32 v2, s3
	flat_load_dwordx2 v[1:2], v[1:2]
.LBB83_2:
	v_mov_b32_e32 v4, s1
	v_mov_b32_e32 v3, s0
	s_andn2_b32 vcc_lo, exec_lo, s7
	s_cbranch_vccnz .LBB83_4
; %bb.3:
	v_mov_b32_e32 v4, s1
	v_mov_b32_e32 v3, s0
	flat_load_dwordx2 v[3:4], v[3:4]
.LBB83_4:
	s_waitcnt vmcnt(0) lgkmcnt(0)
	v_cmp_neq_f64_e32 vcc_lo, 0, v[1:2]
	v_cmp_neq_f64_e64 s0, 1.0, v[3:4]
	s_or_b32 s0, vcc_lo, s0
	s_and_saveexec_b32 s1, s0
	s_cbranch_execz .LBB83_26
; %bb.5:
	s_load_dwordx2 s[0:1], s[4:5], 0x18
	s_waitcnt lgkmcnt(0)
	s_cmp_eq_u64 s[0:1], 0
	s_cbranch_scc1 .LBB83_7
; %bb.6:
	s_ashr_i32 s7, s6, 31
	s_lshl_b64 s[2:3], s[6:7], 2
	s_add_u32 s0, s0, s2
	s_addc_u32 s1, s1, s3
	s_load_dword s0, s[0:1], 0x0
	s_waitcnt lgkmcnt(0)
	s_sub_i32 s6, s0, s16
.LBB83_7:
	s_load_dword s3, s[4:5], 0x40
	v_lshrrev_b32_e32 v5, 5, v0
	s_waitcnt lgkmcnt(0)
	v_cmp_gt_i32_e32 vcc_lo, s3, v5
	s_and_b32 exec_lo, exec_lo, vcc_lo
	s_cbranch_execz .LBB83_26
; %bb.8:
	s_load_dwordx8 s[8:15], s[4:5], 0x20
	s_ashr_i32 s7, s6, 31
	v_mbcnt_lo_u32_b32 v9, -1, 0
	s_lshl_b64 s[22:23], s[6:7], 2
	s_load_dword s27, s[4:5], 0x0
	v_cmp_eq_f64_e64 s0, 0, v[3:4]
	v_and_b32_e32 v7, 31, v0
	v_xor_b32_e32 v10, 16, v9
	v_xor_b32_e32 v11, 8, v9
	v_xor_b32_e32 v12, 4, v9
	v_xor_b32_e32 v13, 2, v9
	v_xor_b32_e32 v14, 1, v9
	v_cmp_gt_i32_e32 vcc_lo, 32, v10
	v_mov_b32_e32 v6, 0
	s_mul_hi_u32 s17, s3, s3
	s_mul_i32 s20, s3, s3
	v_mul_lo_u32 v0, s3, v5
	v_cndmask_b32_e32 v10, v9, v10, vcc_lo
	v_cmp_gt_i32_e32 vcc_lo, 32, v11
	v_mul_lo_u32 v17, s3, v7
	s_waitcnt lgkmcnt(0)
	s_add_u32 s24, s8, s22
	s_addc_u32 s25, s9, s23
	v_cmp_gt_u32_e64 s1, s3, v7
	s_load_dword s26, s[24:25], 0x0
	s_clause 0x1
	s_load_dwordx2 s[8:9], s[4:5], 0x58
	s_load_dwordx2 s[18:19], s[4:5], 0x48
	v_cndmask_b32_e32 v11, v9, v11, vcc_lo
	v_cmp_gt_i32_e32 vcc_lo, 32, v12
	v_mov_b32_e32 v8, v6
	v_lshlrev_b32_e32 v18, 2, v10
	s_mov_b32 s7, 0
	v_lshlrev_b32_e32 v19, 2, v11
	v_cndmask_b32_e32 v12, v9, v12, vcc_lo
	v_cmp_gt_i32_e32 vcc_lo, 32, v13
	s_mul_i32 s6, s6, s3
	v_lshlrev_b32_e32 v20, 2, v12
	v_cndmask_b32_e32 v13, v9, v13, vcc_lo
	v_cmp_gt_i32_e32 vcc_lo, 32, v14
	v_lshlrev_b32_e32 v21, 2, v13
	s_waitcnt lgkmcnt(0)
	s_sub_i32 s21, s26, s16
	s_add_u32 s2, s24, 4
	s_addc_u32 s4, s25, 0
	s_add_u32 s22, s10, s22
	s_addc_u32 s5, s11, s23
	s_cmp_eq_u64 s[10:11], 0
	v_cndmask_b32_e32 v9, v9, v14, vcc_lo
	s_cselect_b32 s5, s4, s5
	s_cselect_b32 s4, s2, s22
	v_cmp_eq_u32_e64 s2, 31, v7
	s_load_dword s4, s[4:5], 0x0
	s_mul_i32 s5, s21, s17
	v_lshlrev_b32_e32 v22, 2, v9
	s_waitcnt lgkmcnt(0)
	s_sub_i32 s10, s4, s16
	s_cmp_lt_i32 s26, s4
	s_mul_hi_u32 s4, s21, s20
	s_cselect_b32 s11, -1, 0
	s_cmp_lg_u32 s27, 0
	s_cselect_b32 s22, -1, 0
	s_ashr_i32 s23, s21, 31
	s_add_i32 s4, s4, s5
	s_mul_i32 s5, s23, s20
	s_mul_i32 s23, s21, s20
	s_add_i32 s24, s4, s5
	s_lshl_b32 s25, s3, 5
	s_branch .LBB83_10
.LBB83_9:                               ;   in Loop: Header=BB83_10 Depth=1
	s_or_b32 exec_lo, exec_lo, s4
	v_add_nc_u32_e32 v5, 32, v5
	v_add_nc_u32_e32 v0, s25, v0
	v_cmp_le_i32_e32 vcc_lo, s3, v5
	s_or_b32 s7, vcc_lo, s7
	s_andn2_b32 exec_lo, exec_lo, s7
	s_cbranch_execz .LBB83_26
.LBB83_10:                              ; =>This Loop Header: Depth=1
                                        ;     Child Loop BB83_14 Depth 2
                                        ;       Child Loop BB83_17 Depth 3
	v_mov_b32_e32 v9, 0
	v_mov_b32_e32 v10, 0
	s_andn2_b32 vcc_lo, exec_lo, s11
	s_cbranch_vccnz .LBB83_21
; %bb.11:                               ;   in Loop: Header=BB83_10 Depth=1
	s_waitcnt lgkmcnt(1)
	v_ashrrev_i32_e32 v11, 31, v0
	v_add_co_u32 v23, vcc_lo, s23, v0
	v_mov_b32_e32 v9, 0
	v_mov_b32_e32 v10, 0
	v_add_co_ci_u32_e64 v24, null, s24, v11, vcc_lo
	s_mov_b32 s4, s21
	s_branch .LBB83_14
.LBB83_12:                              ;   in Loop: Header=BB83_14 Depth=2
	s_or_b32 exec_lo, exec_lo, s5
.LBB83_13:                              ;   in Loop: Header=BB83_14 Depth=2
	s_or_b32 exec_lo, exec_lo, s26
	v_add_co_u32 v23, vcc_lo, v23, s20
	v_add_co_ci_u32_e64 v24, null, s17, v24, vcc_lo
	s_add_i32 s4, s4, 1
	s_cmp_ge_i32 s4, s10
	s_cbranch_scc1 .LBB83_21
.LBB83_14:                              ;   Parent Loop BB83_10 Depth=1
                                        ; =>  This Loop Header: Depth=2
                                        ;       Child Loop BB83_17 Depth 3
	s_and_saveexec_b32 s26, s1
	s_cbranch_execz .LBB83_13
; %bb.15:                               ;   in Loop: Header=BB83_14 Depth=2
	s_ashr_i32 s5, s4, 31
	s_waitcnt lgkmcnt(0)
	v_mad_u64_u32 v[11:12], null, s20, s4, v[5:6]
	s_lshl_b64 s[28:29], s[4:5], 2
	s_mul_i32 s5, s20, s5
	s_add_u32 s28, s12, s28
	s_addc_u32 s29, s13, s29
	v_mov_b32_e32 v14, v8
	s_load_dword s27, s[28:29], 0x0
	s_mul_i32 s28, s17, s4
	v_mov_b32_e32 v25, v17
	v_mov_b32_e32 v13, v7
	v_add3_u32 v12, s5, s28, v12
	s_waitcnt lgkmcnt(0)
	s_sub_i32 s5, s27, s16
	s_mul_i32 s27, s5, s3
	s_mov_b32 s5, 0
	s_branch .LBB83_17
.LBB83_16:                              ;   in Loop: Header=BB83_17 Depth=3
	v_lshlrev_b64 v[15:16], 2, v[15:16]
	v_add_nc_u32_e32 v26, s27, v13
	v_add_nc_u32_e32 v25, s25, v25
	v_ashrrev_i32_e32 v27, 31, v26
	v_add_co_u32 v15, vcc_lo, s14, v15
	v_add_co_ci_u32_e64 v16, null, s15, v16, vcc_lo
	global_load_dword v28, v[15:16], off
	v_lshlrev_b64 v[15:16], 3, v[26:27]
	v_add_co_u32 v15, vcc_lo, s18, v15
	v_add_co_ci_u32_e64 v16, null, s19, v16, vcc_lo
	v_add_co_u32 v13, vcc_lo, v13, 32
	v_add_co_ci_u32_e64 v14, null, 0, v14, vcc_lo
	global_load_dwordx2 v[15:16], v[15:16], off
	v_cmp_le_i32_e32 vcc_lo, s3, v13
	s_or_b32 s5, vcc_lo, s5
	s_waitcnt vmcnt(1)
	v_cvt_f64_f32_e32 v[26:27], v28
	s_waitcnt vmcnt(0)
	v_fma_f64 v[9:10], v[26:27], v[15:16], v[9:10]
	s_andn2_b32 exec_lo, exec_lo, s5
	s_cbranch_execz .LBB83_12
.LBB83_17:                              ;   Parent Loop BB83_10 Depth=1
                                        ;     Parent Loop BB83_14 Depth=2
                                        ; =>    This Inner Loop Header: Depth=3
	s_and_b32 vcc_lo, exec_lo, s22
	s_cbranch_vccz .LBB83_19
; %bb.18:                               ;   in Loop: Header=BB83_17 Depth=3
	v_ashrrev_i32_e32 v16, 31, v25
	v_add_co_u32 v15, vcc_lo, v11, v25
	v_add_co_ci_u32_e64 v16, null, v12, v16, vcc_lo
	s_cbranch_execnz .LBB83_16
	s_branch .LBB83_20
.LBB83_19:                              ;   in Loop: Header=BB83_17 Depth=3
                                        ; implicit-def: $vgpr15_vgpr16
.LBB83_20:                              ;   in Loop: Header=BB83_17 Depth=3
	v_add_co_u32 v15, vcc_lo, v23, v13
	v_add_co_ci_u32_e64 v16, null, v24, v14, vcc_lo
	s_branch .LBB83_16
.LBB83_21:                              ;   in Loop: Header=BB83_10 Depth=1
	s_waitcnt lgkmcnt(1)
	ds_bpermute_b32 v11, v18, v9
	s_waitcnt lgkmcnt(1)
	ds_bpermute_b32 v12, v18, v10
	s_waitcnt lgkmcnt(0)
	v_add_f64 v[9:10], v[9:10], v[11:12]
	ds_bpermute_b32 v11, v19, v9
	ds_bpermute_b32 v12, v19, v10
	s_waitcnt lgkmcnt(0)
	v_add_f64 v[9:10], v[9:10], v[11:12]
	ds_bpermute_b32 v11, v20, v9
	;; [unrolled: 4-line block ×4, first 2 shown]
	ds_bpermute_b32 v12, v22, v10
	s_and_saveexec_b32 s4, s2
	s_cbranch_execz .LBB83_9
; %bb.22:                               ;   in Loop: Header=BB83_10 Depth=1
	s_waitcnt lgkmcnt(0)
	v_add_f64 v[9:10], v[9:10], v[11:12]
	v_add_nc_u32_e32 v11, s6, v5
	v_ashrrev_i32_e32 v12, 31, v11
	v_mul_f64 v[9:10], v[1:2], v[9:10]
	s_and_saveexec_b32 s5, s0
	s_xor_b32 s5, exec_lo, s5
	s_cbranch_execz .LBB83_24
; %bb.23:                               ;   in Loop: Header=BB83_10 Depth=1
	v_lshlrev_b64 v[11:12], 3, v[11:12]
	v_add_co_u32 v11, vcc_lo, s8, v11
	v_add_co_ci_u32_e64 v12, null, s9, v12, vcc_lo
	global_store_dwordx2 v[11:12], v[9:10], off
                                        ; implicit-def: $vgpr11
                                        ; implicit-def: $vgpr9_vgpr10
.LBB83_24:                              ;   in Loop: Header=BB83_10 Depth=1
	s_andn2_saveexec_b32 s5, s5
	s_cbranch_execz .LBB83_9
; %bb.25:                               ;   in Loop: Header=BB83_10 Depth=1
	v_lshlrev_b64 v[11:12], 3, v[11:12]
	v_add_co_u32 v11, vcc_lo, s8, v11
	v_add_co_ci_u32_e64 v12, null, s9, v12, vcc_lo
	global_load_dwordx2 v[13:14], v[11:12], off
	s_waitcnt vmcnt(0)
	v_fma_f64 v[9:10], v[3:4], v[13:14], v[9:10]
	global_store_dwordx2 v[11:12], v[9:10], off
	s_branch .LBB83_9
.LBB83_26:
	s_endpgm
	.section	.rodata,"a",@progbits
	.p2align	6, 0x0
	.amdhsa_kernel _ZN9rocsparseL22bsrxmvn_general_kernelILj1024ELj32EdiifddEEv20rocsparse_direction_NS_24const_host_device_scalarIT1_EET3_PKS5_PKT2_SA_S7_PKT4_S5_PKT5_S4_PT6_21rocsparse_index_base_b
		.amdhsa_group_segment_fixed_size 0
		.amdhsa_private_segment_fixed_size 0
		.amdhsa_kernarg_size 104
		.amdhsa_user_sgpr_count 6
		.amdhsa_user_sgpr_private_segment_buffer 1
		.amdhsa_user_sgpr_dispatch_ptr 0
		.amdhsa_user_sgpr_queue_ptr 0
		.amdhsa_user_sgpr_kernarg_segment_ptr 1
		.amdhsa_user_sgpr_dispatch_id 0
		.amdhsa_user_sgpr_flat_scratch_init 0
		.amdhsa_user_sgpr_private_segment_size 0
		.amdhsa_wavefront_size32 1
		.amdhsa_uses_dynamic_stack 0
		.amdhsa_system_sgpr_private_segment_wavefront_offset 0
		.amdhsa_system_sgpr_workgroup_id_x 1
		.amdhsa_system_sgpr_workgroup_id_y 0
		.amdhsa_system_sgpr_workgroup_id_z 0
		.amdhsa_system_sgpr_workgroup_info 0
		.amdhsa_system_vgpr_workitem_id 0
		.amdhsa_next_free_vgpr 29
		.amdhsa_next_free_sgpr 30
		.amdhsa_reserve_vcc 1
		.amdhsa_reserve_flat_scratch 0
		.amdhsa_float_round_mode_32 0
		.amdhsa_float_round_mode_16_64 0
		.amdhsa_float_denorm_mode_32 3
		.amdhsa_float_denorm_mode_16_64 3
		.amdhsa_dx10_clamp 1
		.amdhsa_ieee_mode 1
		.amdhsa_fp16_overflow 0
		.amdhsa_workgroup_processor_mode 1
		.amdhsa_memory_ordered 1
		.amdhsa_forward_progress 1
		.amdhsa_shared_vgpr_count 0
		.amdhsa_exception_fp_ieee_invalid_op 0
		.amdhsa_exception_fp_denorm_src 0
		.amdhsa_exception_fp_ieee_div_zero 0
		.amdhsa_exception_fp_ieee_overflow 0
		.amdhsa_exception_fp_ieee_underflow 0
		.amdhsa_exception_fp_ieee_inexact 0
		.amdhsa_exception_int_div_zero 0
	.end_amdhsa_kernel
	.section	.text._ZN9rocsparseL22bsrxmvn_general_kernelILj1024ELj32EdiifddEEv20rocsparse_direction_NS_24const_host_device_scalarIT1_EET3_PKS5_PKT2_SA_S7_PKT4_S5_PKT5_S4_PT6_21rocsparse_index_base_b,"axG",@progbits,_ZN9rocsparseL22bsrxmvn_general_kernelILj1024ELj32EdiifddEEv20rocsparse_direction_NS_24const_host_device_scalarIT1_EET3_PKS5_PKT2_SA_S7_PKT4_S5_PKT5_S4_PT6_21rocsparse_index_base_b,comdat
.Lfunc_end83:
	.size	_ZN9rocsparseL22bsrxmvn_general_kernelILj1024ELj32EdiifddEEv20rocsparse_direction_NS_24const_host_device_scalarIT1_EET3_PKS5_PKT2_SA_S7_PKT4_S5_PKT5_S4_PT6_21rocsparse_index_base_b, .Lfunc_end83-_ZN9rocsparseL22bsrxmvn_general_kernelILj1024ELj32EdiifddEEv20rocsparse_direction_NS_24const_host_device_scalarIT1_EET3_PKS5_PKT2_SA_S7_PKT4_S5_PKT5_S4_PT6_21rocsparse_index_base_b
                                        ; -- End function
	.set _ZN9rocsparseL22bsrxmvn_general_kernelILj1024ELj32EdiifddEEv20rocsparse_direction_NS_24const_host_device_scalarIT1_EET3_PKS5_PKT2_SA_S7_PKT4_S5_PKT5_S4_PT6_21rocsparse_index_base_b.num_vgpr, 29
	.set _ZN9rocsparseL22bsrxmvn_general_kernelILj1024ELj32EdiifddEEv20rocsparse_direction_NS_24const_host_device_scalarIT1_EET3_PKS5_PKT2_SA_S7_PKT4_S5_PKT5_S4_PT6_21rocsparse_index_base_b.num_agpr, 0
	.set _ZN9rocsparseL22bsrxmvn_general_kernelILj1024ELj32EdiifddEEv20rocsparse_direction_NS_24const_host_device_scalarIT1_EET3_PKS5_PKT2_SA_S7_PKT4_S5_PKT5_S4_PT6_21rocsparse_index_base_b.numbered_sgpr, 30
	.set _ZN9rocsparseL22bsrxmvn_general_kernelILj1024ELj32EdiifddEEv20rocsparse_direction_NS_24const_host_device_scalarIT1_EET3_PKS5_PKT2_SA_S7_PKT4_S5_PKT5_S4_PT6_21rocsparse_index_base_b.num_named_barrier, 0
	.set _ZN9rocsparseL22bsrxmvn_general_kernelILj1024ELj32EdiifddEEv20rocsparse_direction_NS_24const_host_device_scalarIT1_EET3_PKS5_PKT2_SA_S7_PKT4_S5_PKT5_S4_PT6_21rocsparse_index_base_b.private_seg_size, 0
	.set _ZN9rocsparseL22bsrxmvn_general_kernelILj1024ELj32EdiifddEEv20rocsparse_direction_NS_24const_host_device_scalarIT1_EET3_PKS5_PKT2_SA_S7_PKT4_S5_PKT5_S4_PT6_21rocsparse_index_base_b.uses_vcc, 1
	.set _ZN9rocsparseL22bsrxmvn_general_kernelILj1024ELj32EdiifddEEv20rocsparse_direction_NS_24const_host_device_scalarIT1_EET3_PKS5_PKT2_SA_S7_PKT4_S5_PKT5_S4_PT6_21rocsparse_index_base_b.uses_flat_scratch, 0
	.set _ZN9rocsparseL22bsrxmvn_general_kernelILj1024ELj32EdiifddEEv20rocsparse_direction_NS_24const_host_device_scalarIT1_EET3_PKS5_PKT2_SA_S7_PKT4_S5_PKT5_S4_PT6_21rocsparse_index_base_b.has_dyn_sized_stack, 0
	.set _ZN9rocsparseL22bsrxmvn_general_kernelILj1024ELj32EdiifddEEv20rocsparse_direction_NS_24const_host_device_scalarIT1_EET3_PKS5_PKT2_SA_S7_PKT4_S5_PKT5_S4_PT6_21rocsparse_index_base_b.has_recursion, 0
	.set _ZN9rocsparseL22bsrxmvn_general_kernelILj1024ELj32EdiifddEEv20rocsparse_direction_NS_24const_host_device_scalarIT1_EET3_PKS5_PKT2_SA_S7_PKT4_S5_PKT5_S4_PT6_21rocsparse_index_base_b.has_indirect_call, 0
	.section	.AMDGPU.csdata,"",@progbits
; Kernel info:
; codeLenInByte = 1220
; TotalNumSgprs: 32
; NumVgprs: 29
; ScratchSize: 0
; MemoryBound: 0
; FloatMode: 240
; IeeeMode: 1
; LDSByteSize: 0 bytes/workgroup (compile time only)
; SGPRBlocks: 0
; VGPRBlocks: 3
; NumSGPRsForWavesPerEU: 32
; NumVGPRsForWavesPerEU: 29
; Occupancy: 16
; WaveLimiterHint : 1
; COMPUTE_PGM_RSRC2:SCRATCH_EN: 0
; COMPUTE_PGM_RSRC2:USER_SGPR: 6
; COMPUTE_PGM_RSRC2:TRAP_HANDLER: 0
; COMPUTE_PGM_RSRC2:TGID_X_EN: 1
; COMPUTE_PGM_RSRC2:TGID_Y_EN: 0
; COMPUTE_PGM_RSRC2:TGID_Z_EN: 0
; COMPUTE_PGM_RSRC2:TIDIG_COMP_CNT: 0
	.section	.text._ZN9rocsparseL22bsrxmvn_general_kernelILj64ELj8EdlifddEEv20rocsparse_direction_NS_24const_host_device_scalarIT1_EET3_PKS5_PKT2_SA_S7_PKT4_S5_PKT5_S4_PT6_21rocsparse_index_base_b,"axG",@progbits,_ZN9rocsparseL22bsrxmvn_general_kernelILj64ELj8EdlifddEEv20rocsparse_direction_NS_24const_host_device_scalarIT1_EET3_PKS5_PKT2_SA_S7_PKT4_S5_PKT5_S4_PT6_21rocsparse_index_base_b,comdat
	.globl	_ZN9rocsparseL22bsrxmvn_general_kernelILj64ELj8EdlifddEEv20rocsparse_direction_NS_24const_host_device_scalarIT1_EET3_PKS5_PKT2_SA_S7_PKT4_S5_PKT5_S4_PT6_21rocsparse_index_base_b ; -- Begin function _ZN9rocsparseL22bsrxmvn_general_kernelILj64ELj8EdlifddEEv20rocsparse_direction_NS_24const_host_device_scalarIT1_EET3_PKS5_PKT2_SA_S7_PKT4_S5_PKT5_S4_PT6_21rocsparse_index_base_b
	.p2align	8
	.type	_ZN9rocsparseL22bsrxmvn_general_kernelILj64ELj8EdlifddEEv20rocsparse_direction_NS_24const_host_device_scalarIT1_EET3_PKS5_PKT2_SA_S7_PKT4_S5_PKT5_S4_PT6_21rocsparse_index_base_b,@function
_ZN9rocsparseL22bsrxmvn_general_kernelILj64ELj8EdlifddEEv20rocsparse_direction_NS_24const_host_device_scalarIT1_EET3_PKS5_PKT2_SA_S7_PKT4_S5_PKT5_S4_PT6_21rocsparse_index_base_b: ; @_ZN9rocsparseL22bsrxmvn_general_kernelILj64ELj8EdlifddEEv20rocsparse_direction_NS_24const_host_device_scalarIT1_EET3_PKS5_PKT2_SA_S7_PKT4_S5_PKT5_S4_PT6_21rocsparse_index_base_b
; %bb.0:
	s_clause 0x2
	s_load_dwordx2 s[16:17], s[4:5], 0x60
	s_load_dwordx2 s[2:3], s[4:5], 0x8
	;; [unrolled: 1-line block ×3, first 2 shown]
	s_waitcnt lgkmcnt(0)
	s_bitcmp1_b32 s17, 0
	v_mov_b32_e32 v1, s2
	v_mov_b32_e32 v2, s3
	s_cselect_b32 s7, -1, 0
	s_and_b32 vcc_lo, exec_lo, s7
	s_xor_b32 s7, s7, -1
	s_cbranch_vccnz .LBB84_2
; %bb.1:
	v_mov_b32_e32 v1, s2
	v_mov_b32_e32 v2, s3
	flat_load_dwordx2 v[1:2], v[1:2]
.LBB84_2:
	v_mov_b32_e32 v4, s1
	v_mov_b32_e32 v3, s0
	s_andn2_b32 vcc_lo, exec_lo, s7
	s_cbranch_vccnz .LBB84_4
; %bb.3:
	v_mov_b32_e32 v4, s1
	v_mov_b32_e32 v3, s0
	flat_load_dwordx2 v[3:4], v[3:4]
.LBB84_4:
	s_waitcnt vmcnt(0) lgkmcnt(0)
	v_cmp_neq_f64_e32 vcc_lo, 0, v[1:2]
	v_cmp_neq_f64_e64 s0, 1.0, v[3:4]
	s_or_b32 s0, vcc_lo, s0
	s_and_saveexec_b32 s1, s0
	s_cbranch_execz .LBB84_26
; %bb.5:
	s_load_dwordx2 s[0:1], s[4:5], 0x18
	s_waitcnt lgkmcnt(0)
	s_cmp_eq_u64 s[0:1], 0
	s_cbranch_scc1 .LBB84_7
; %bb.6:
	s_ashr_i32 s7, s6, 31
	s_lshl_b64 s[2:3], s[6:7], 2
	s_add_u32 s0, s0, s2
	s_addc_u32 s1, s1, s3
	s_load_dword s0, s[0:1], 0x0
	s_waitcnt lgkmcnt(0)
	s_sub_i32 s6, s0, s16
.LBB84_7:
	s_load_dword s3, s[4:5], 0x40
	v_lshrrev_b32_e32 v5, 3, v0
	s_waitcnt lgkmcnt(0)
	v_cmp_gt_i32_e32 vcc_lo, s3, v5
	s_and_b32 exec_lo, exec_lo, vcc_lo
	s_cbranch_execz .LBB84_26
; %bb.8:
	s_load_dwordx8 s[8:15], s[4:5], 0x20
	s_ashr_i32 s7, s6, 31
	s_load_dword s28, s[4:5], 0x0
	s_lshl_b64 s[22:23], s[6:7], 3
	v_mbcnt_lo_u32_b32 v6, -1, 0
	v_cmp_eq_f64_e64 s0, 0, v[3:4]
	v_and_b32_e32 v7, 7, v0
	s_mul_hi_u32 s20, s3, s3
	s_mul_i32 s21, s3, s3
	v_xor_b32_e32 v9, 4, v6
	v_xor_b32_e32 v10, 2, v6
	;; [unrolled: 1-line block ×3, first 2 shown]
	v_mul_lo_u32 v0, s3, v5
	v_mul_lo_u32 v17, s3, v7
	v_cmp_gt_i32_e32 vcc_lo, 32, v9
	v_mov_b32_e32 v8, 0
	s_mov_b32 s17, 0
	v_cndmask_b32_e32 v9, v6, v9, vcc_lo
	s_waitcnt lgkmcnt(0)
	s_add_u32 s24, s8, s22
	s_addc_u32 s25, s9, s23
	v_cmp_gt_i32_e32 vcc_lo, 32, v10
	s_load_dwordx2 s[26:27], s[24:25], 0x0
	s_clause 0x1
	s_load_dwordx2 s[8:9], s[4:5], 0x58
	s_load_dwordx2 s[18:19], s[4:5], 0x48
	v_lshlrev_b32_e32 v18, 2, v9
	v_cndmask_b32_e32 v10, v6, v10, vcc_lo
	v_cmp_gt_i32_e32 vcc_lo, 32, v11
	v_lshlrev_b32_e32 v19, 2, v10
	v_cndmask_b32_e32 v6, v6, v11, vcc_lo
	v_lshlrev_b32_e32 v20, 2, v6
	s_waitcnt lgkmcnt(0)
	s_sub_u32 s4, s26, s16
	s_subb_u32 s5, s27, 0
	s_add_u32 s1, s24, 8
	s_addc_u32 s2, s25, 0
	s_add_u32 s24, s10, s22
	s_addc_u32 s7, s11, s23
	s_cmp_eq_u64 s[10:11], 0
	s_mul_i32 s22, s6, s3
	s_cselect_b32 s7, s2, s7
	s_cselect_b32 s6, s1, s24
	s_mul_i32 s25, s4, s20
	s_load_dwordx2 s[10:11], s[6:7], 0x0
	s_mul_hi_u32 s29, s4, s21
	v_cmp_gt_u32_e64 s1, s3, v7
	v_cmp_eq_u32_e64 s2, 7, v7
	s_mul_i32 s30, s5, s21
	s_waitcnt lgkmcnt(0)
	s_sub_u32 s6, s10, s16
	s_subb_u32 s7, s11, 0
	s_cmp_lg_u32 s28, 0
	v_cmp_lt_i64_e64 s23, s[26:27], s[10:11]
	s_cselect_b32 s24, -1, 0
	s_add_i32 s10, s29, s25
	s_mul_i32 s25, s4, s21
	s_add_i32 s26, s10, s30
	s_lshl_b32 s27, s3, 3
	s_branch .LBB84_10
.LBB84_9:                               ;   in Loop: Header=BB84_10 Depth=1
	s_or_b32 exec_lo, exec_lo, s10
	v_add_nc_u32_e32 v5, 8, v5
	v_add_nc_u32_e32 v0, s27, v0
	v_cmp_le_i32_e32 vcc_lo, s3, v5
	s_or_b32 s17, vcc_lo, s17
	s_andn2_b32 exec_lo, exec_lo, s17
	s_cbranch_execz .LBB84_26
.LBB84_10:                              ; =>This Loop Header: Depth=1
                                        ;     Child Loop BB84_14 Depth 2
                                        ;       Child Loop BB84_17 Depth 3
	v_mov_b32_e32 v9, 0
	v_mov_b32_e32 v10, 0
	s_andn2_b32 vcc_lo, exec_lo, s23
	s_cbranch_vccnz .LBB84_21
; %bb.11:                               ;   in Loop: Header=BB84_10 Depth=1
	v_ashrrev_i32_e32 v6, 31, v0
	v_add_co_u32 v21, vcc_lo, s25, v0
	v_mov_b32_e32 v9, 0
	v_mov_b32_e32 v10, 0
	v_add_co_ci_u32_e64 v22, null, s26, v6, vcc_lo
	v_ashrrev_i32_e32 v6, 31, v5
	s_mov_b64 s[10:11], s[4:5]
	s_branch .LBB84_14
.LBB84_12:                              ;   in Loop: Header=BB84_14 Depth=2
	s_or_b32 exec_lo, exec_lo, s29
.LBB84_13:                              ;   in Loop: Header=BB84_14 Depth=2
	s_or_b32 exec_lo, exec_lo, s28
	s_add_u32 s10, s10, 1
	s_addc_u32 s11, s11, 0
	v_add_co_u32 v21, vcc_lo, v21, s21
	v_cmp_ge_i64_e64 s28, s[10:11], s[6:7]
	v_add_co_ci_u32_e64 v22, null, s20, v22, vcc_lo
	s_and_b32 vcc_lo, exec_lo, s28
	s_cbranch_vccnz .LBB84_21
.LBB84_14:                              ;   Parent Loop BB84_10 Depth=1
                                        ; =>  This Loop Header: Depth=2
                                        ;       Child Loop BB84_17 Depth 3
	s_and_saveexec_b32 s28, s1
	s_cbranch_execz .LBB84_13
; %bb.15:                               ;   in Loop: Header=BB84_14 Depth=2
	s_lshl_b64 s[30:31], s[10:11], 2
	s_waitcnt lgkmcnt(0)
	v_mad_u64_u32 v[11:12], null, s21, s10, v[5:6]
	s_add_u32 s30, s12, s30
	s_addc_u32 s31, s13, s31
	v_mov_b32_e32 v14, v8
	s_load_dword s29, s[30:31], 0x0
	s_mul_i32 s30, s20, s10
	s_mul_i32 s31, s21, s11
	v_mov_b32_e32 v23, v17
	v_mov_b32_e32 v13, v7
	v_add3_u32 v12, s31, s30, v12
	s_waitcnt lgkmcnt(0)
	s_sub_i32 s29, s29, s16
	s_mul_i32 s30, s29, s3
	s_mov_b32 s29, 0
	s_branch .LBB84_17
.LBB84_16:                              ;   in Loop: Header=BB84_17 Depth=3
	v_lshlrev_b64 v[15:16], 2, v[15:16]
	v_add_nc_u32_e32 v24, s30, v13
	v_add_nc_u32_e32 v23, s27, v23
	v_ashrrev_i32_e32 v25, 31, v24
	v_add_co_u32 v15, vcc_lo, s14, v15
	v_add_co_ci_u32_e64 v16, null, s15, v16, vcc_lo
	global_load_dword v26, v[15:16], off
	v_lshlrev_b64 v[15:16], 3, v[24:25]
	v_add_co_u32 v15, vcc_lo, s18, v15
	v_add_co_ci_u32_e64 v16, null, s19, v16, vcc_lo
	v_add_co_u32 v13, vcc_lo, v13, 8
	v_add_co_ci_u32_e64 v14, null, 0, v14, vcc_lo
	global_load_dwordx2 v[15:16], v[15:16], off
	v_cmp_le_i32_e32 vcc_lo, s3, v13
	s_or_b32 s29, vcc_lo, s29
	s_waitcnt vmcnt(1)
	v_cvt_f64_f32_e32 v[24:25], v26
	s_waitcnt vmcnt(0)
	v_fma_f64 v[9:10], v[24:25], v[15:16], v[9:10]
	s_andn2_b32 exec_lo, exec_lo, s29
	s_cbranch_execz .LBB84_12
.LBB84_17:                              ;   Parent Loop BB84_10 Depth=1
                                        ;     Parent Loop BB84_14 Depth=2
                                        ; =>    This Inner Loop Header: Depth=3
	s_and_b32 vcc_lo, exec_lo, s24
	s_cbranch_vccz .LBB84_19
; %bb.18:                               ;   in Loop: Header=BB84_17 Depth=3
	v_ashrrev_i32_e32 v16, 31, v23
	v_add_co_u32 v15, vcc_lo, v11, v23
	v_add_co_ci_u32_e64 v16, null, v12, v16, vcc_lo
	s_cbranch_execnz .LBB84_16
	s_branch .LBB84_20
.LBB84_19:                              ;   in Loop: Header=BB84_17 Depth=3
                                        ; implicit-def: $vgpr15_vgpr16
.LBB84_20:                              ;   in Loop: Header=BB84_17 Depth=3
	v_add_co_u32 v15, vcc_lo, v21, v13
	v_add_co_ci_u32_e64 v16, null, v22, v14, vcc_lo
	s_branch .LBB84_16
.LBB84_21:                              ;   in Loop: Header=BB84_10 Depth=1
	s_waitcnt lgkmcnt(1)
	ds_bpermute_b32 v11, v18, v9
	s_waitcnt lgkmcnt(1)
	ds_bpermute_b32 v12, v18, v10
	s_waitcnt lgkmcnt(0)
	v_add_f64 v[9:10], v[9:10], v[11:12]
	ds_bpermute_b32 v11, v19, v9
	ds_bpermute_b32 v12, v19, v10
	s_waitcnt lgkmcnt(0)
	v_add_f64 v[9:10], v[9:10], v[11:12]
	ds_bpermute_b32 v11, v20, v9
	ds_bpermute_b32 v12, v20, v10
	s_and_saveexec_b32 s10, s2
	s_cbranch_execz .LBB84_9
; %bb.22:                               ;   in Loop: Header=BB84_10 Depth=1
	s_waitcnt lgkmcnt(0)
	v_add_f64 v[9:10], v[9:10], v[11:12]
	v_add_nc_u32_e32 v11, s22, v5
	v_ashrrev_i32_e32 v12, 31, v11
	v_mul_f64 v[9:10], v[1:2], v[9:10]
	s_and_saveexec_b32 s11, s0
	s_xor_b32 s11, exec_lo, s11
	s_cbranch_execz .LBB84_24
; %bb.23:                               ;   in Loop: Header=BB84_10 Depth=1
	v_lshlrev_b64 v[11:12], 3, v[11:12]
	v_add_co_u32 v11, vcc_lo, s8, v11
	v_add_co_ci_u32_e64 v12, null, s9, v12, vcc_lo
	global_store_dwordx2 v[11:12], v[9:10], off
                                        ; implicit-def: $vgpr11
                                        ; implicit-def: $vgpr9_vgpr10
.LBB84_24:                              ;   in Loop: Header=BB84_10 Depth=1
	s_andn2_saveexec_b32 s11, s11
	s_cbranch_execz .LBB84_9
; %bb.25:                               ;   in Loop: Header=BB84_10 Depth=1
	v_lshlrev_b64 v[11:12], 3, v[11:12]
	v_add_co_u32 v11, vcc_lo, s8, v11
	v_add_co_ci_u32_e64 v12, null, s9, v12, vcc_lo
	global_load_dwordx2 v[13:14], v[11:12], off
	s_waitcnt vmcnt(0)
	v_fma_f64 v[9:10], v[3:4], v[13:14], v[9:10]
	global_store_dwordx2 v[11:12], v[9:10], off
	s_branch .LBB84_9
.LBB84_26:
	s_endpgm
	.section	.rodata,"a",@progbits
	.p2align	6, 0x0
	.amdhsa_kernel _ZN9rocsparseL22bsrxmvn_general_kernelILj64ELj8EdlifddEEv20rocsparse_direction_NS_24const_host_device_scalarIT1_EET3_PKS5_PKT2_SA_S7_PKT4_S5_PKT5_S4_PT6_21rocsparse_index_base_b
		.amdhsa_group_segment_fixed_size 0
		.amdhsa_private_segment_fixed_size 0
		.amdhsa_kernarg_size 104
		.amdhsa_user_sgpr_count 6
		.amdhsa_user_sgpr_private_segment_buffer 1
		.amdhsa_user_sgpr_dispatch_ptr 0
		.amdhsa_user_sgpr_queue_ptr 0
		.amdhsa_user_sgpr_kernarg_segment_ptr 1
		.amdhsa_user_sgpr_dispatch_id 0
		.amdhsa_user_sgpr_flat_scratch_init 0
		.amdhsa_user_sgpr_private_segment_size 0
		.amdhsa_wavefront_size32 1
		.amdhsa_uses_dynamic_stack 0
		.amdhsa_system_sgpr_private_segment_wavefront_offset 0
		.amdhsa_system_sgpr_workgroup_id_x 1
		.amdhsa_system_sgpr_workgroup_id_y 0
		.amdhsa_system_sgpr_workgroup_id_z 0
		.amdhsa_system_sgpr_workgroup_info 0
		.amdhsa_system_vgpr_workitem_id 0
		.amdhsa_next_free_vgpr 27
		.amdhsa_next_free_sgpr 32
		.amdhsa_reserve_vcc 1
		.amdhsa_reserve_flat_scratch 0
		.amdhsa_float_round_mode_32 0
		.amdhsa_float_round_mode_16_64 0
		.amdhsa_float_denorm_mode_32 3
		.amdhsa_float_denorm_mode_16_64 3
		.amdhsa_dx10_clamp 1
		.amdhsa_ieee_mode 1
		.amdhsa_fp16_overflow 0
		.amdhsa_workgroup_processor_mode 1
		.amdhsa_memory_ordered 1
		.amdhsa_forward_progress 1
		.amdhsa_shared_vgpr_count 0
		.amdhsa_exception_fp_ieee_invalid_op 0
		.amdhsa_exception_fp_denorm_src 0
		.amdhsa_exception_fp_ieee_div_zero 0
		.amdhsa_exception_fp_ieee_overflow 0
		.amdhsa_exception_fp_ieee_underflow 0
		.amdhsa_exception_fp_ieee_inexact 0
		.amdhsa_exception_int_div_zero 0
	.end_amdhsa_kernel
	.section	.text._ZN9rocsparseL22bsrxmvn_general_kernelILj64ELj8EdlifddEEv20rocsparse_direction_NS_24const_host_device_scalarIT1_EET3_PKS5_PKT2_SA_S7_PKT4_S5_PKT5_S4_PT6_21rocsparse_index_base_b,"axG",@progbits,_ZN9rocsparseL22bsrxmvn_general_kernelILj64ELj8EdlifddEEv20rocsparse_direction_NS_24const_host_device_scalarIT1_EET3_PKS5_PKT2_SA_S7_PKT4_S5_PKT5_S4_PT6_21rocsparse_index_base_b,comdat
.Lfunc_end84:
	.size	_ZN9rocsparseL22bsrxmvn_general_kernelILj64ELj8EdlifddEEv20rocsparse_direction_NS_24const_host_device_scalarIT1_EET3_PKS5_PKT2_SA_S7_PKT4_S5_PKT5_S4_PT6_21rocsparse_index_base_b, .Lfunc_end84-_ZN9rocsparseL22bsrxmvn_general_kernelILj64ELj8EdlifddEEv20rocsparse_direction_NS_24const_host_device_scalarIT1_EET3_PKS5_PKT2_SA_S7_PKT4_S5_PKT5_S4_PT6_21rocsparse_index_base_b
                                        ; -- End function
	.set _ZN9rocsparseL22bsrxmvn_general_kernelILj64ELj8EdlifddEEv20rocsparse_direction_NS_24const_host_device_scalarIT1_EET3_PKS5_PKT2_SA_S7_PKT4_S5_PKT5_S4_PT6_21rocsparse_index_base_b.num_vgpr, 27
	.set _ZN9rocsparseL22bsrxmvn_general_kernelILj64ELj8EdlifddEEv20rocsparse_direction_NS_24const_host_device_scalarIT1_EET3_PKS5_PKT2_SA_S7_PKT4_S5_PKT5_S4_PT6_21rocsparse_index_base_b.num_agpr, 0
	.set _ZN9rocsparseL22bsrxmvn_general_kernelILj64ELj8EdlifddEEv20rocsparse_direction_NS_24const_host_device_scalarIT1_EET3_PKS5_PKT2_SA_S7_PKT4_S5_PKT5_S4_PT6_21rocsparse_index_base_b.numbered_sgpr, 32
	.set _ZN9rocsparseL22bsrxmvn_general_kernelILj64ELj8EdlifddEEv20rocsparse_direction_NS_24const_host_device_scalarIT1_EET3_PKS5_PKT2_SA_S7_PKT4_S5_PKT5_S4_PT6_21rocsparse_index_base_b.num_named_barrier, 0
	.set _ZN9rocsparseL22bsrxmvn_general_kernelILj64ELj8EdlifddEEv20rocsparse_direction_NS_24const_host_device_scalarIT1_EET3_PKS5_PKT2_SA_S7_PKT4_S5_PKT5_S4_PT6_21rocsparse_index_base_b.private_seg_size, 0
	.set _ZN9rocsparseL22bsrxmvn_general_kernelILj64ELj8EdlifddEEv20rocsparse_direction_NS_24const_host_device_scalarIT1_EET3_PKS5_PKT2_SA_S7_PKT4_S5_PKT5_S4_PT6_21rocsparse_index_base_b.uses_vcc, 1
	.set _ZN9rocsparseL22bsrxmvn_general_kernelILj64ELj8EdlifddEEv20rocsparse_direction_NS_24const_host_device_scalarIT1_EET3_PKS5_PKT2_SA_S7_PKT4_S5_PKT5_S4_PT6_21rocsparse_index_base_b.uses_flat_scratch, 0
	.set _ZN9rocsparseL22bsrxmvn_general_kernelILj64ELj8EdlifddEEv20rocsparse_direction_NS_24const_host_device_scalarIT1_EET3_PKS5_PKT2_SA_S7_PKT4_S5_PKT5_S4_PT6_21rocsparse_index_base_b.has_dyn_sized_stack, 0
	.set _ZN9rocsparseL22bsrxmvn_general_kernelILj64ELj8EdlifddEEv20rocsparse_direction_NS_24const_host_device_scalarIT1_EET3_PKS5_PKT2_SA_S7_PKT4_S5_PKT5_S4_PT6_21rocsparse_index_base_b.has_recursion, 0
	.set _ZN9rocsparseL22bsrxmvn_general_kernelILj64ELj8EdlifddEEv20rocsparse_direction_NS_24const_host_device_scalarIT1_EET3_PKS5_PKT2_SA_S7_PKT4_S5_PKT5_S4_PT6_21rocsparse_index_base_b.has_indirect_call, 0
	.section	.AMDGPU.csdata,"",@progbits
; Kernel info:
; codeLenInByte = 1140
; TotalNumSgprs: 34
; NumVgprs: 27
; ScratchSize: 0
; MemoryBound: 0
; FloatMode: 240
; IeeeMode: 1
; LDSByteSize: 0 bytes/workgroup (compile time only)
; SGPRBlocks: 0
; VGPRBlocks: 3
; NumSGPRsForWavesPerEU: 34
; NumVGPRsForWavesPerEU: 27
; Occupancy: 16
; WaveLimiterHint : 1
; COMPUTE_PGM_RSRC2:SCRATCH_EN: 0
; COMPUTE_PGM_RSRC2:USER_SGPR: 6
; COMPUTE_PGM_RSRC2:TRAP_HANDLER: 0
; COMPUTE_PGM_RSRC2:TGID_X_EN: 1
; COMPUTE_PGM_RSRC2:TGID_Y_EN: 0
; COMPUTE_PGM_RSRC2:TGID_Z_EN: 0
; COMPUTE_PGM_RSRC2:TIDIG_COMP_CNT: 0
	.section	.text._ZN9rocsparseL22bsrxmvn_general_kernelILj256ELj16EdlifddEEv20rocsparse_direction_NS_24const_host_device_scalarIT1_EET3_PKS5_PKT2_SA_S7_PKT4_S5_PKT5_S4_PT6_21rocsparse_index_base_b,"axG",@progbits,_ZN9rocsparseL22bsrxmvn_general_kernelILj256ELj16EdlifddEEv20rocsparse_direction_NS_24const_host_device_scalarIT1_EET3_PKS5_PKT2_SA_S7_PKT4_S5_PKT5_S4_PT6_21rocsparse_index_base_b,comdat
	.globl	_ZN9rocsparseL22bsrxmvn_general_kernelILj256ELj16EdlifddEEv20rocsparse_direction_NS_24const_host_device_scalarIT1_EET3_PKS5_PKT2_SA_S7_PKT4_S5_PKT5_S4_PT6_21rocsparse_index_base_b ; -- Begin function _ZN9rocsparseL22bsrxmvn_general_kernelILj256ELj16EdlifddEEv20rocsparse_direction_NS_24const_host_device_scalarIT1_EET3_PKS5_PKT2_SA_S7_PKT4_S5_PKT5_S4_PT6_21rocsparse_index_base_b
	.p2align	8
	.type	_ZN9rocsparseL22bsrxmvn_general_kernelILj256ELj16EdlifddEEv20rocsparse_direction_NS_24const_host_device_scalarIT1_EET3_PKS5_PKT2_SA_S7_PKT4_S5_PKT5_S4_PT6_21rocsparse_index_base_b,@function
_ZN9rocsparseL22bsrxmvn_general_kernelILj256ELj16EdlifddEEv20rocsparse_direction_NS_24const_host_device_scalarIT1_EET3_PKS5_PKT2_SA_S7_PKT4_S5_PKT5_S4_PT6_21rocsparse_index_base_b: ; @_ZN9rocsparseL22bsrxmvn_general_kernelILj256ELj16EdlifddEEv20rocsparse_direction_NS_24const_host_device_scalarIT1_EET3_PKS5_PKT2_SA_S7_PKT4_S5_PKT5_S4_PT6_21rocsparse_index_base_b
; %bb.0:
	s_clause 0x2
	s_load_dwordx2 s[16:17], s[4:5], 0x60
	s_load_dwordx2 s[2:3], s[4:5], 0x8
	;; [unrolled: 1-line block ×3, first 2 shown]
	s_waitcnt lgkmcnt(0)
	s_bitcmp1_b32 s17, 0
	v_mov_b32_e32 v1, s2
	v_mov_b32_e32 v2, s3
	s_cselect_b32 s7, -1, 0
	s_and_b32 vcc_lo, exec_lo, s7
	s_xor_b32 s7, s7, -1
	s_cbranch_vccnz .LBB85_2
; %bb.1:
	v_mov_b32_e32 v1, s2
	v_mov_b32_e32 v2, s3
	flat_load_dwordx2 v[1:2], v[1:2]
.LBB85_2:
	v_mov_b32_e32 v4, s1
	v_mov_b32_e32 v3, s0
	s_andn2_b32 vcc_lo, exec_lo, s7
	s_cbranch_vccnz .LBB85_4
; %bb.3:
	v_mov_b32_e32 v4, s1
	v_mov_b32_e32 v3, s0
	flat_load_dwordx2 v[3:4], v[3:4]
.LBB85_4:
	s_waitcnt vmcnt(0) lgkmcnt(0)
	v_cmp_neq_f64_e32 vcc_lo, 0, v[1:2]
	v_cmp_neq_f64_e64 s0, 1.0, v[3:4]
	s_or_b32 s0, vcc_lo, s0
	s_and_saveexec_b32 s1, s0
	s_cbranch_execz .LBB85_26
; %bb.5:
	s_load_dwordx2 s[0:1], s[4:5], 0x18
	s_waitcnt lgkmcnt(0)
	s_cmp_eq_u64 s[0:1], 0
	s_cbranch_scc1 .LBB85_7
; %bb.6:
	s_ashr_i32 s7, s6, 31
	s_lshl_b64 s[2:3], s[6:7], 2
	s_add_u32 s0, s0, s2
	s_addc_u32 s1, s1, s3
	s_load_dword s0, s[0:1], 0x0
	s_waitcnt lgkmcnt(0)
	s_sub_i32 s6, s0, s16
.LBB85_7:
	s_load_dword s3, s[4:5], 0x40
	v_lshrrev_b32_e32 v5, 4, v0
	s_waitcnt lgkmcnt(0)
	v_cmp_gt_i32_e32 vcc_lo, s3, v5
	s_and_b32 exec_lo, exec_lo, vcc_lo
	s_cbranch_execz .LBB85_26
; %bb.8:
	s_load_dwordx8 s[8:15], s[4:5], 0x20
	s_ashr_i32 s7, s6, 31
	v_mbcnt_lo_u32_b32 v6, -1, 0
	s_lshl_b64 s[26:27], s[6:7], 3
	s_load_dword s25, s[4:5], 0x0
	s_mul_i32 s24, s6, s3
	v_cmp_eq_f64_e64 s0, 0, v[3:4]
	v_xor_b32_e32 v9, 8, v6
	v_xor_b32_e32 v10, 4, v6
	;; [unrolled: 1-line block ×4, first 2 shown]
	v_and_b32_e32 v7, 15, v0
	v_cmp_gt_i32_e32 vcc_lo, 32, v9
	s_mul_hi_u32 s22, s3, s3
	s_mul_i32 s23, s3, s3
	v_mul_lo_u32 v0, s3, v5
	v_mul_lo_u32 v17, s3, v7
	v_cndmask_b32_e32 v9, v6, v9, vcc_lo
	v_cmp_gt_i32_e32 vcc_lo, 32, v10
	v_mov_b32_e32 v8, 0
	s_waitcnt lgkmcnt(0)
	s_add_u32 s28, s8, s26
	s_addc_u32 s29, s9, s27
	v_cmp_gt_u32_e64 s1, s3, v7
	s_load_dwordx2 s[20:21], s[28:29], 0x0
	s_clause 0x1
	s_load_dwordx2 s[8:9], s[4:5], 0x58
	s_load_dwordx2 s[18:19], s[4:5], 0x48
	v_cndmask_b32_e32 v10, v6, v10, vcc_lo
	v_cmp_gt_i32_e32 vcc_lo, 32, v11
	v_lshlrev_b32_e32 v18, 2, v9
	s_mov_b32 s17, 0
	v_lshlrev_b32_e32 v19, 2, v10
	v_cndmask_b32_e32 v11, v6, v11, vcc_lo
	v_cmp_gt_i32_e32 vcc_lo, 32, v12
	v_lshlrev_b32_e32 v20, 2, v11
	v_cndmask_b32_e32 v6, v6, v12, vcc_lo
	v_lshlrev_b32_e32 v21, 2, v6
	s_waitcnt lgkmcnt(0)
	s_sub_u32 s4, s20, s16
	s_subb_u32 s5, s21, 0
	s_add_u32 s2, s28, 8
	s_addc_u32 s6, s29, 0
	s_add_u32 s26, s10, s26
	s_addc_u32 s7, s11, s27
	s_cmp_eq_u64 s[10:11], 0
	s_mul_hi_u32 s27, s4, s23
	s_cselect_b32 s7, s6, s7
	s_cselect_b32 s6, s2, s26
	s_mul_i32 s26, s4, s22
	s_load_dwordx2 s[10:11], s[6:7], 0x0
	v_cmp_eq_u32_e64 s2, 15, v7
	s_mul_i32 s28, s5, s23
	s_waitcnt lgkmcnt(0)
	s_sub_u32 s6, s10, s16
	s_subb_u32 s7, s11, 0
	s_cmp_lg_u32 s25, 0
	v_cmp_lt_i64_e64 s20, s[20:21], s[10:11]
	s_cselect_b32 s21, -1, 0
	s_add_i32 s10, s27, s26
	s_mul_i32 s25, s4, s23
	s_add_i32 s26, s10, s28
	s_lshl_b32 s27, s3, 4
	s_branch .LBB85_10
.LBB85_9:                               ;   in Loop: Header=BB85_10 Depth=1
	s_or_b32 exec_lo, exec_lo, s10
	v_add_nc_u32_e32 v5, 16, v5
	v_add_nc_u32_e32 v0, s27, v0
	v_cmp_le_i32_e32 vcc_lo, s3, v5
	s_or_b32 s17, vcc_lo, s17
	s_andn2_b32 exec_lo, exec_lo, s17
	s_cbranch_execz .LBB85_26
.LBB85_10:                              ; =>This Loop Header: Depth=1
                                        ;     Child Loop BB85_14 Depth 2
                                        ;       Child Loop BB85_17 Depth 3
	v_mov_b32_e32 v9, 0
	v_mov_b32_e32 v10, 0
	s_andn2_b32 vcc_lo, exec_lo, s20
	s_cbranch_vccnz .LBB85_21
; %bb.11:                               ;   in Loop: Header=BB85_10 Depth=1
	v_ashrrev_i32_e32 v6, 31, v0
	v_add_co_u32 v22, vcc_lo, s25, v0
	v_mov_b32_e32 v9, 0
	v_mov_b32_e32 v10, 0
	v_add_co_ci_u32_e64 v23, null, s26, v6, vcc_lo
	v_ashrrev_i32_e32 v6, 31, v5
	s_mov_b64 s[10:11], s[4:5]
	s_branch .LBB85_14
.LBB85_12:                              ;   in Loop: Header=BB85_14 Depth=2
	s_or_b32 exec_lo, exec_lo, s29
.LBB85_13:                              ;   in Loop: Header=BB85_14 Depth=2
	s_or_b32 exec_lo, exec_lo, s28
	s_add_u32 s10, s10, 1
	s_addc_u32 s11, s11, 0
	v_add_co_u32 v22, vcc_lo, v22, s23
	v_cmp_ge_i64_e64 s28, s[10:11], s[6:7]
	v_add_co_ci_u32_e64 v23, null, s22, v23, vcc_lo
	s_and_b32 vcc_lo, exec_lo, s28
	s_cbranch_vccnz .LBB85_21
.LBB85_14:                              ;   Parent Loop BB85_10 Depth=1
                                        ; =>  This Loop Header: Depth=2
                                        ;       Child Loop BB85_17 Depth 3
	s_and_saveexec_b32 s28, s1
	s_cbranch_execz .LBB85_13
; %bb.15:                               ;   in Loop: Header=BB85_14 Depth=2
	s_lshl_b64 s[30:31], s[10:11], 2
	s_waitcnt lgkmcnt(0)
	v_mad_u64_u32 v[11:12], null, s23, s10, v[5:6]
	s_add_u32 s30, s12, s30
	s_addc_u32 s31, s13, s31
	v_mov_b32_e32 v14, v8
	s_load_dword s29, s[30:31], 0x0
	s_mul_i32 s30, s22, s10
	s_mul_i32 s31, s23, s11
	v_mov_b32_e32 v24, v17
	v_mov_b32_e32 v13, v7
	v_add3_u32 v12, s31, s30, v12
	s_waitcnt lgkmcnt(0)
	s_sub_i32 s29, s29, s16
	s_mul_i32 s30, s29, s3
	s_mov_b32 s29, 0
	s_branch .LBB85_17
.LBB85_16:                              ;   in Loop: Header=BB85_17 Depth=3
	v_lshlrev_b64 v[15:16], 2, v[15:16]
	v_add_nc_u32_e32 v25, s30, v13
	v_add_nc_u32_e32 v24, s27, v24
	v_ashrrev_i32_e32 v26, 31, v25
	v_add_co_u32 v15, vcc_lo, s14, v15
	v_add_co_ci_u32_e64 v16, null, s15, v16, vcc_lo
	global_load_dword v27, v[15:16], off
	v_lshlrev_b64 v[15:16], 3, v[25:26]
	v_add_co_u32 v15, vcc_lo, s18, v15
	v_add_co_ci_u32_e64 v16, null, s19, v16, vcc_lo
	v_add_co_u32 v13, vcc_lo, v13, 16
	v_add_co_ci_u32_e64 v14, null, 0, v14, vcc_lo
	global_load_dwordx2 v[15:16], v[15:16], off
	v_cmp_le_i32_e32 vcc_lo, s3, v13
	s_or_b32 s29, vcc_lo, s29
	s_waitcnt vmcnt(1)
	v_cvt_f64_f32_e32 v[25:26], v27
	s_waitcnt vmcnt(0)
	v_fma_f64 v[9:10], v[25:26], v[15:16], v[9:10]
	s_andn2_b32 exec_lo, exec_lo, s29
	s_cbranch_execz .LBB85_12
.LBB85_17:                              ;   Parent Loop BB85_10 Depth=1
                                        ;     Parent Loop BB85_14 Depth=2
                                        ; =>    This Inner Loop Header: Depth=3
	s_and_b32 vcc_lo, exec_lo, s21
	s_cbranch_vccz .LBB85_19
; %bb.18:                               ;   in Loop: Header=BB85_17 Depth=3
	v_ashrrev_i32_e32 v16, 31, v24
	v_add_co_u32 v15, vcc_lo, v11, v24
	v_add_co_ci_u32_e64 v16, null, v12, v16, vcc_lo
	s_cbranch_execnz .LBB85_16
	s_branch .LBB85_20
.LBB85_19:                              ;   in Loop: Header=BB85_17 Depth=3
                                        ; implicit-def: $vgpr15_vgpr16
.LBB85_20:                              ;   in Loop: Header=BB85_17 Depth=3
	v_add_co_u32 v15, vcc_lo, v22, v13
	v_add_co_ci_u32_e64 v16, null, v23, v14, vcc_lo
	s_branch .LBB85_16
.LBB85_21:                              ;   in Loop: Header=BB85_10 Depth=1
	s_waitcnt lgkmcnt(1)
	ds_bpermute_b32 v11, v18, v9
	s_waitcnt lgkmcnt(1)
	ds_bpermute_b32 v12, v18, v10
	s_waitcnt lgkmcnt(0)
	v_add_f64 v[9:10], v[9:10], v[11:12]
	ds_bpermute_b32 v11, v19, v9
	ds_bpermute_b32 v12, v19, v10
	s_waitcnt lgkmcnt(0)
	v_add_f64 v[9:10], v[9:10], v[11:12]
	ds_bpermute_b32 v11, v20, v9
	ds_bpermute_b32 v12, v20, v10
	s_waitcnt lgkmcnt(0)
	v_add_f64 v[9:10], v[9:10], v[11:12]
	ds_bpermute_b32 v11, v21, v9
	ds_bpermute_b32 v12, v21, v10
	s_and_saveexec_b32 s10, s2
	s_cbranch_execz .LBB85_9
; %bb.22:                               ;   in Loop: Header=BB85_10 Depth=1
	s_waitcnt lgkmcnt(0)
	v_add_f64 v[9:10], v[9:10], v[11:12]
	v_add_nc_u32_e32 v11, s24, v5
	v_ashrrev_i32_e32 v12, 31, v11
	v_mul_f64 v[9:10], v[1:2], v[9:10]
	s_and_saveexec_b32 s11, s0
	s_xor_b32 s11, exec_lo, s11
	s_cbranch_execz .LBB85_24
; %bb.23:                               ;   in Loop: Header=BB85_10 Depth=1
	v_lshlrev_b64 v[11:12], 3, v[11:12]
	v_add_co_u32 v11, vcc_lo, s8, v11
	v_add_co_ci_u32_e64 v12, null, s9, v12, vcc_lo
	global_store_dwordx2 v[11:12], v[9:10], off
                                        ; implicit-def: $vgpr11
                                        ; implicit-def: $vgpr9_vgpr10
.LBB85_24:                              ;   in Loop: Header=BB85_10 Depth=1
	s_andn2_saveexec_b32 s11, s11
	s_cbranch_execz .LBB85_9
; %bb.25:                               ;   in Loop: Header=BB85_10 Depth=1
	v_lshlrev_b64 v[11:12], 3, v[11:12]
	v_add_co_u32 v11, vcc_lo, s8, v11
	v_add_co_ci_u32_e64 v12, null, s9, v12, vcc_lo
	global_load_dwordx2 v[13:14], v[11:12], off
	s_waitcnt vmcnt(0)
	v_fma_f64 v[9:10], v[3:4], v[13:14], v[9:10]
	global_store_dwordx2 v[11:12], v[9:10], off
	s_branch .LBB85_9
.LBB85_26:
	s_endpgm
	.section	.rodata,"a",@progbits
	.p2align	6, 0x0
	.amdhsa_kernel _ZN9rocsparseL22bsrxmvn_general_kernelILj256ELj16EdlifddEEv20rocsparse_direction_NS_24const_host_device_scalarIT1_EET3_PKS5_PKT2_SA_S7_PKT4_S5_PKT5_S4_PT6_21rocsparse_index_base_b
		.amdhsa_group_segment_fixed_size 0
		.amdhsa_private_segment_fixed_size 0
		.amdhsa_kernarg_size 104
		.amdhsa_user_sgpr_count 6
		.amdhsa_user_sgpr_private_segment_buffer 1
		.amdhsa_user_sgpr_dispatch_ptr 0
		.amdhsa_user_sgpr_queue_ptr 0
		.amdhsa_user_sgpr_kernarg_segment_ptr 1
		.amdhsa_user_sgpr_dispatch_id 0
		.amdhsa_user_sgpr_flat_scratch_init 0
		.amdhsa_user_sgpr_private_segment_size 0
		.amdhsa_wavefront_size32 1
		.amdhsa_uses_dynamic_stack 0
		.amdhsa_system_sgpr_private_segment_wavefront_offset 0
		.amdhsa_system_sgpr_workgroup_id_x 1
		.amdhsa_system_sgpr_workgroup_id_y 0
		.amdhsa_system_sgpr_workgroup_id_z 0
		.amdhsa_system_sgpr_workgroup_info 0
		.amdhsa_system_vgpr_workitem_id 0
		.amdhsa_next_free_vgpr 28
		.amdhsa_next_free_sgpr 32
		.amdhsa_reserve_vcc 1
		.amdhsa_reserve_flat_scratch 0
		.amdhsa_float_round_mode_32 0
		.amdhsa_float_round_mode_16_64 0
		.amdhsa_float_denorm_mode_32 3
		.amdhsa_float_denorm_mode_16_64 3
		.amdhsa_dx10_clamp 1
		.amdhsa_ieee_mode 1
		.amdhsa_fp16_overflow 0
		.amdhsa_workgroup_processor_mode 1
		.amdhsa_memory_ordered 1
		.amdhsa_forward_progress 1
		.amdhsa_shared_vgpr_count 0
		.amdhsa_exception_fp_ieee_invalid_op 0
		.amdhsa_exception_fp_denorm_src 0
		.amdhsa_exception_fp_ieee_div_zero 0
		.amdhsa_exception_fp_ieee_overflow 0
		.amdhsa_exception_fp_ieee_underflow 0
		.amdhsa_exception_fp_ieee_inexact 0
		.amdhsa_exception_int_div_zero 0
	.end_amdhsa_kernel
	.section	.text._ZN9rocsparseL22bsrxmvn_general_kernelILj256ELj16EdlifddEEv20rocsparse_direction_NS_24const_host_device_scalarIT1_EET3_PKS5_PKT2_SA_S7_PKT4_S5_PKT5_S4_PT6_21rocsparse_index_base_b,"axG",@progbits,_ZN9rocsparseL22bsrxmvn_general_kernelILj256ELj16EdlifddEEv20rocsparse_direction_NS_24const_host_device_scalarIT1_EET3_PKS5_PKT2_SA_S7_PKT4_S5_PKT5_S4_PT6_21rocsparse_index_base_b,comdat
.Lfunc_end85:
	.size	_ZN9rocsparseL22bsrxmvn_general_kernelILj256ELj16EdlifddEEv20rocsparse_direction_NS_24const_host_device_scalarIT1_EET3_PKS5_PKT2_SA_S7_PKT4_S5_PKT5_S4_PT6_21rocsparse_index_base_b, .Lfunc_end85-_ZN9rocsparseL22bsrxmvn_general_kernelILj256ELj16EdlifddEEv20rocsparse_direction_NS_24const_host_device_scalarIT1_EET3_PKS5_PKT2_SA_S7_PKT4_S5_PKT5_S4_PT6_21rocsparse_index_base_b
                                        ; -- End function
	.set _ZN9rocsparseL22bsrxmvn_general_kernelILj256ELj16EdlifddEEv20rocsparse_direction_NS_24const_host_device_scalarIT1_EET3_PKS5_PKT2_SA_S7_PKT4_S5_PKT5_S4_PT6_21rocsparse_index_base_b.num_vgpr, 28
	.set _ZN9rocsparseL22bsrxmvn_general_kernelILj256ELj16EdlifddEEv20rocsparse_direction_NS_24const_host_device_scalarIT1_EET3_PKS5_PKT2_SA_S7_PKT4_S5_PKT5_S4_PT6_21rocsparse_index_base_b.num_agpr, 0
	.set _ZN9rocsparseL22bsrxmvn_general_kernelILj256ELj16EdlifddEEv20rocsparse_direction_NS_24const_host_device_scalarIT1_EET3_PKS5_PKT2_SA_S7_PKT4_S5_PKT5_S4_PT6_21rocsparse_index_base_b.numbered_sgpr, 32
	.set _ZN9rocsparseL22bsrxmvn_general_kernelILj256ELj16EdlifddEEv20rocsparse_direction_NS_24const_host_device_scalarIT1_EET3_PKS5_PKT2_SA_S7_PKT4_S5_PKT5_S4_PT6_21rocsparse_index_base_b.num_named_barrier, 0
	.set _ZN9rocsparseL22bsrxmvn_general_kernelILj256ELj16EdlifddEEv20rocsparse_direction_NS_24const_host_device_scalarIT1_EET3_PKS5_PKT2_SA_S7_PKT4_S5_PKT5_S4_PT6_21rocsparse_index_base_b.private_seg_size, 0
	.set _ZN9rocsparseL22bsrxmvn_general_kernelILj256ELj16EdlifddEEv20rocsparse_direction_NS_24const_host_device_scalarIT1_EET3_PKS5_PKT2_SA_S7_PKT4_S5_PKT5_S4_PT6_21rocsparse_index_base_b.uses_vcc, 1
	.set _ZN9rocsparseL22bsrxmvn_general_kernelILj256ELj16EdlifddEEv20rocsparse_direction_NS_24const_host_device_scalarIT1_EET3_PKS5_PKT2_SA_S7_PKT4_S5_PKT5_S4_PT6_21rocsparse_index_base_b.uses_flat_scratch, 0
	.set _ZN9rocsparseL22bsrxmvn_general_kernelILj256ELj16EdlifddEEv20rocsparse_direction_NS_24const_host_device_scalarIT1_EET3_PKS5_PKT2_SA_S7_PKT4_S5_PKT5_S4_PT6_21rocsparse_index_base_b.has_dyn_sized_stack, 0
	.set _ZN9rocsparseL22bsrxmvn_general_kernelILj256ELj16EdlifddEEv20rocsparse_direction_NS_24const_host_device_scalarIT1_EET3_PKS5_PKT2_SA_S7_PKT4_S5_PKT5_S4_PT6_21rocsparse_index_base_b.has_recursion, 0
	.set _ZN9rocsparseL22bsrxmvn_general_kernelILj256ELj16EdlifddEEv20rocsparse_direction_NS_24const_host_device_scalarIT1_EET3_PKS5_PKT2_SA_S7_PKT4_S5_PKT5_S4_PT6_21rocsparse_index_base_b.has_indirect_call, 0
	.section	.AMDGPU.csdata,"",@progbits
; Kernel info:
; codeLenInByte = 1184
; TotalNumSgprs: 34
; NumVgprs: 28
; ScratchSize: 0
; MemoryBound: 0
; FloatMode: 240
; IeeeMode: 1
; LDSByteSize: 0 bytes/workgroup (compile time only)
; SGPRBlocks: 0
; VGPRBlocks: 3
; NumSGPRsForWavesPerEU: 34
; NumVGPRsForWavesPerEU: 28
; Occupancy: 16
; WaveLimiterHint : 1
; COMPUTE_PGM_RSRC2:SCRATCH_EN: 0
; COMPUTE_PGM_RSRC2:USER_SGPR: 6
; COMPUTE_PGM_RSRC2:TRAP_HANDLER: 0
; COMPUTE_PGM_RSRC2:TGID_X_EN: 1
; COMPUTE_PGM_RSRC2:TGID_Y_EN: 0
; COMPUTE_PGM_RSRC2:TGID_Z_EN: 0
; COMPUTE_PGM_RSRC2:TIDIG_COMP_CNT: 0
	.section	.text._ZN9rocsparseL22bsrxmvn_general_kernelILj1024ELj32EdlifddEEv20rocsparse_direction_NS_24const_host_device_scalarIT1_EET3_PKS5_PKT2_SA_S7_PKT4_S5_PKT5_S4_PT6_21rocsparse_index_base_b,"axG",@progbits,_ZN9rocsparseL22bsrxmvn_general_kernelILj1024ELj32EdlifddEEv20rocsparse_direction_NS_24const_host_device_scalarIT1_EET3_PKS5_PKT2_SA_S7_PKT4_S5_PKT5_S4_PT6_21rocsparse_index_base_b,comdat
	.globl	_ZN9rocsparseL22bsrxmvn_general_kernelILj1024ELj32EdlifddEEv20rocsparse_direction_NS_24const_host_device_scalarIT1_EET3_PKS5_PKT2_SA_S7_PKT4_S5_PKT5_S4_PT6_21rocsparse_index_base_b ; -- Begin function _ZN9rocsparseL22bsrxmvn_general_kernelILj1024ELj32EdlifddEEv20rocsparse_direction_NS_24const_host_device_scalarIT1_EET3_PKS5_PKT2_SA_S7_PKT4_S5_PKT5_S4_PT6_21rocsparse_index_base_b
	.p2align	8
	.type	_ZN9rocsparseL22bsrxmvn_general_kernelILj1024ELj32EdlifddEEv20rocsparse_direction_NS_24const_host_device_scalarIT1_EET3_PKS5_PKT2_SA_S7_PKT4_S5_PKT5_S4_PT6_21rocsparse_index_base_b,@function
_ZN9rocsparseL22bsrxmvn_general_kernelILj1024ELj32EdlifddEEv20rocsparse_direction_NS_24const_host_device_scalarIT1_EET3_PKS5_PKT2_SA_S7_PKT4_S5_PKT5_S4_PT6_21rocsparse_index_base_b: ; @_ZN9rocsparseL22bsrxmvn_general_kernelILj1024ELj32EdlifddEEv20rocsparse_direction_NS_24const_host_device_scalarIT1_EET3_PKS5_PKT2_SA_S7_PKT4_S5_PKT5_S4_PT6_21rocsparse_index_base_b
; %bb.0:
	s_clause 0x2
	s_load_dwordx2 s[16:17], s[4:5], 0x60
	s_load_dwordx2 s[2:3], s[4:5], 0x8
	;; [unrolled: 1-line block ×3, first 2 shown]
	s_waitcnt lgkmcnt(0)
	s_bitcmp1_b32 s17, 0
	v_mov_b32_e32 v1, s2
	v_mov_b32_e32 v2, s3
	s_cselect_b32 s7, -1, 0
	s_and_b32 vcc_lo, exec_lo, s7
	s_xor_b32 s7, s7, -1
	s_cbranch_vccnz .LBB86_2
; %bb.1:
	v_mov_b32_e32 v1, s2
	v_mov_b32_e32 v2, s3
	flat_load_dwordx2 v[1:2], v[1:2]
.LBB86_2:
	v_mov_b32_e32 v4, s1
	v_mov_b32_e32 v3, s0
	s_andn2_b32 vcc_lo, exec_lo, s7
	s_cbranch_vccnz .LBB86_4
; %bb.3:
	v_mov_b32_e32 v4, s1
	v_mov_b32_e32 v3, s0
	flat_load_dwordx2 v[3:4], v[3:4]
.LBB86_4:
	s_waitcnt vmcnt(0) lgkmcnt(0)
	v_cmp_neq_f64_e32 vcc_lo, 0, v[1:2]
	v_cmp_neq_f64_e64 s0, 1.0, v[3:4]
	s_or_b32 s0, vcc_lo, s0
	s_and_saveexec_b32 s1, s0
	s_cbranch_execz .LBB86_26
; %bb.5:
	s_load_dwordx2 s[0:1], s[4:5], 0x18
	s_waitcnt lgkmcnt(0)
	s_cmp_eq_u64 s[0:1], 0
	s_cbranch_scc1 .LBB86_7
; %bb.6:
	s_ashr_i32 s7, s6, 31
	s_lshl_b64 s[2:3], s[6:7], 2
	s_add_u32 s0, s0, s2
	s_addc_u32 s1, s1, s3
	s_load_dword s0, s[0:1], 0x0
	s_waitcnt lgkmcnt(0)
	s_sub_i32 s6, s0, s16
.LBB86_7:
	s_load_dword s3, s[4:5], 0x40
	v_lshrrev_b32_e32 v5, 5, v0
	s_waitcnt lgkmcnt(0)
	v_cmp_gt_i32_e32 vcc_lo, s3, v5
	s_and_b32 exec_lo, exec_lo, vcc_lo
	s_cbranch_execz .LBB86_26
; %bb.8:
	s_load_dwordx8 s[8:15], s[4:5], 0x20
	s_ashr_i32 s7, s6, 31
	v_mbcnt_lo_u32_b32 v9, -1, 0
	s_lshl_b64 s[26:27], s[6:7], 3
	s_load_dword s25, s[4:5], 0x0
	s_mul_i32 s24, s6, s3
	v_cmp_eq_f64_e64 s0, 0, v[3:4]
	v_xor_b32_e32 v10, 16, v9
	v_xor_b32_e32 v11, 8, v9
	;; [unrolled: 1-line block ×5, first 2 shown]
	v_cmp_gt_i32_e32 vcc_lo, 32, v10
	v_and_b32_e32 v7, 31, v0
	v_mov_b32_e32 v6, 0
	s_mul_hi_u32 s22, s3, s3
	s_mul_i32 s23, s3, s3
	v_cndmask_b32_e32 v10, v9, v10, vcc_lo
	v_cmp_gt_i32_e32 vcc_lo, 32, v11
	v_mul_lo_u32 v0, s3, v5
	s_waitcnt lgkmcnt(0)
	s_add_u32 s28, s8, s26
	s_addc_u32 s29, s9, s27
	v_mul_lo_u32 v17, s3, v7
	s_load_dwordx2 s[20:21], s[28:29], 0x0
	s_clause 0x1
	s_load_dwordx2 s[8:9], s[4:5], 0x58
	s_load_dwordx2 s[18:19], s[4:5], 0x48
	v_cndmask_b32_e32 v11, v9, v11, vcc_lo
	v_cmp_gt_i32_e32 vcc_lo, 32, v12
	v_cmp_gt_u32_e64 s1, s3, v7
	v_cmp_eq_u32_e64 s2, 31, v7
	v_mov_b32_e32 v8, v6
	v_lshlrev_b32_e32 v18, 2, v10
	v_cndmask_b32_e32 v12, v9, v12, vcc_lo
	v_cmp_gt_i32_e32 vcc_lo, 32, v13
	v_lshlrev_b32_e32 v19, 2, v11
	s_mov_b32 s17, 0
	v_lshlrev_b32_e32 v20, 2, v12
	v_cndmask_b32_e32 v13, v9, v13, vcc_lo
	v_cmp_gt_i32_e32 vcc_lo, 32, v14
	v_lshlrev_b32_e32 v21, 2, v13
	s_waitcnt lgkmcnt(0)
	s_sub_u32 s4, s20, s16
	s_subb_u32 s5, s21, 0
	s_add_u32 s6, s28, 8
	s_addc_u32 s7, s29, 0
	s_add_u32 s26, s10, s26
	s_addc_u32 s27, s11, s27
	s_cmp_eq_u64 s[10:11], 0
	v_cndmask_b32_e32 v9, v9, v14, vcc_lo
	s_cselect_b32 s7, s7, s27
	s_cselect_b32 s6, s6, s26
	s_mul_i32 s26, s4, s22
	s_load_dwordx2 s[10:11], s[6:7], 0x0
	s_mul_hi_u32 s27, s4, s23
	v_lshlrev_b32_e32 v22, 2, v9
	s_mul_i32 s28, s5, s23
	s_waitcnt lgkmcnt(0)
	s_sub_u32 s6, s10, s16
	s_subb_u32 s7, s11, 0
	s_cmp_lg_u32 s25, 0
	v_cmp_lt_i64_e64 s20, s[20:21], s[10:11]
	s_cselect_b32 s21, -1, 0
	s_add_i32 s10, s27, s26
	s_mul_i32 s25, s4, s23
	s_add_i32 s26, s10, s28
	s_lshl_b32 s27, s3, 5
	s_branch .LBB86_10
.LBB86_9:                               ;   in Loop: Header=BB86_10 Depth=1
	s_or_b32 exec_lo, exec_lo, s10
	v_add_nc_u32_e32 v5, 32, v5
	v_add_nc_u32_e32 v0, s27, v0
	v_cmp_le_i32_e32 vcc_lo, s3, v5
	s_or_b32 s17, vcc_lo, s17
	s_andn2_b32 exec_lo, exec_lo, s17
	s_cbranch_execz .LBB86_26
.LBB86_10:                              ; =>This Loop Header: Depth=1
                                        ;     Child Loop BB86_14 Depth 2
                                        ;       Child Loop BB86_17 Depth 3
	v_mov_b32_e32 v9, 0
	v_mov_b32_e32 v10, 0
	s_andn2_b32 vcc_lo, exec_lo, s20
	s_cbranch_vccnz .LBB86_21
; %bb.11:                               ;   in Loop: Header=BB86_10 Depth=1
	s_waitcnt lgkmcnt(1)
	v_ashrrev_i32_e32 v11, 31, v0
	v_add_co_u32 v23, vcc_lo, s25, v0
	v_mov_b32_e32 v9, 0
	v_mov_b32_e32 v10, 0
	v_add_co_ci_u32_e64 v24, null, s26, v11, vcc_lo
	s_mov_b64 s[10:11], s[4:5]
	s_branch .LBB86_14
.LBB86_12:                              ;   in Loop: Header=BB86_14 Depth=2
	s_or_b32 exec_lo, exec_lo, s29
.LBB86_13:                              ;   in Loop: Header=BB86_14 Depth=2
	s_or_b32 exec_lo, exec_lo, s28
	s_add_u32 s10, s10, 1
	s_addc_u32 s11, s11, 0
	v_add_co_u32 v23, vcc_lo, v23, s23
	v_cmp_ge_i64_e64 s28, s[10:11], s[6:7]
	v_add_co_ci_u32_e64 v24, null, s22, v24, vcc_lo
	s_and_b32 vcc_lo, exec_lo, s28
	s_cbranch_vccnz .LBB86_21
.LBB86_14:                              ;   Parent Loop BB86_10 Depth=1
                                        ; =>  This Loop Header: Depth=2
                                        ;       Child Loop BB86_17 Depth 3
	s_and_saveexec_b32 s28, s1
	s_cbranch_execz .LBB86_13
; %bb.15:                               ;   in Loop: Header=BB86_14 Depth=2
	s_lshl_b64 s[30:31], s[10:11], 2
	s_waitcnt lgkmcnt(0)
	v_mad_u64_u32 v[11:12], null, s23, s10, v[5:6]
	s_add_u32 s30, s12, s30
	s_addc_u32 s31, s13, s31
	v_mov_b32_e32 v14, v8
	s_load_dword s29, s[30:31], 0x0
	s_mul_i32 s30, s22, s10
	s_mul_i32 s31, s23, s11
	v_mov_b32_e32 v25, v17
	v_mov_b32_e32 v13, v7
	v_add3_u32 v12, s31, s30, v12
	s_waitcnt lgkmcnt(0)
	s_sub_i32 s29, s29, s16
	s_mul_i32 s30, s29, s3
	s_mov_b32 s29, 0
	s_branch .LBB86_17
.LBB86_16:                              ;   in Loop: Header=BB86_17 Depth=3
	v_lshlrev_b64 v[15:16], 2, v[15:16]
	v_add_nc_u32_e32 v26, s30, v13
	v_add_nc_u32_e32 v25, s27, v25
	v_ashrrev_i32_e32 v27, 31, v26
	v_add_co_u32 v15, vcc_lo, s14, v15
	v_add_co_ci_u32_e64 v16, null, s15, v16, vcc_lo
	global_load_dword v28, v[15:16], off
	v_lshlrev_b64 v[15:16], 3, v[26:27]
	v_add_co_u32 v15, vcc_lo, s18, v15
	v_add_co_ci_u32_e64 v16, null, s19, v16, vcc_lo
	v_add_co_u32 v13, vcc_lo, v13, 32
	v_add_co_ci_u32_e64 v14, null, 0, v14, vcc_lo
	global_load_dwordx2 v[15:16], v[15:16], off
	v_cmp_le_i32_e32 vcc_lo, s3, v13
	s_or_b32 s29, vcc_lo, s29
	s_waitcnt vmcnt(1)
	v_cvt_f64_f32_e32 v[26:27], v28
	s_waitcnt vmcnt(0)
	v_fma_f64 v[9:10], v[26:27], v[15:16], v[9:10]
	s_andn2_b32 exec_lo, exec_lo, s29
	s_cbranch_execz .LBB86_12
.LBB86_17:                              ;   Parent Loop BB86_10 Depth=1
                                        ;     Parent Loop BB86_14 Depth=2
                                        ; =>    This Inner Loop Header: Depth=3
	s_and_b32 vcc_lo, exec_lo, s21
	s_cbranch_vccz .LBB86_19
; %bb.18:                               ;   in Loop: Header=BB86_17 Depth=3
	v_ashrrev_i32_e32 v16, 31, v25
	v_add_co_u32 v15, vcc_lo, v11, v25
	v_add_co_ci_u32_e64 v16, null, v12, v16, vcc_lo
	s_cbranch_execnz .LBB86_16
	s_branch .LBB86_20
.LBB86_19:                              ;   in Loop: Header=BB86_17 Depth=3
                                        ; implicit-def: $vgpr15_vgpr16
.LBB86_20:                              ;   in Loop: Header=BB86_17 Depth=3
	v_add_co_u32 v15, vcc_lo, v23, v13
	v_add_co_ci_u32_e64 v16, null, v24, v14, vcc_lo
	s_branch .LBB86_16
.LBB86_21:                              ;   in Loop: Header=BB86_10 Depth=1
	s_waitcnt lgkmcnt(1)
	ds_bpermute_b32 v11, v18, v9
	s_waitcnt lgkmcnt(1)
	ds_bpermute_b32 v12, v18, v10
	s_waitcnt lgkmcnt(0)
	v_add_f64 v[9:10], v[9:10], v[11:12]
	ds_bpermute_b32 v11, v19, v9
	ds_bpermute_b32 v12, v19, v10
	s_waitcnt lgkmcnt(0)
	v_add_f64 v[9:10], v[9:10], v[11:12]
	ds_bpermute_b32 v11, v20, v9
	;; [unrolled: 4-line block ×4, first 2 shown]
	ds_bpermute_b32 v12, v22, v10
	s_and_saveexec_b32 s10, s2
	s_cbranch_execz .LBB86_9
; %bb.22:                               ;   in Loop: Header=BB86_10 Depth=1
	s_waitcnt lgkmcnt(0)
	v_add_f64 v[9:10], v[9:10], v[11:12]
	v_add_nc_u32_e32 v11, s24, v5
	v_ashrrev_i32_e32 v12, 31, v11
	v_mul_f64 v[9:10], v[1:2], v[9:10]
	s_and_saveexec_b32 s11, s0
	s_xor_b32 s11, exec_lo, s11
	s_cbranch_execz .LBB86_24
; %bb.23:                               ;   in Loop: Header=BB86_10 Depth=1
	v_lshlrev_b64 v[11:12], 3, v[11:12]
	v_add_co_u32 v11, vcc_lo, s8, v11
	v_add_co_ci_u32_e64 v12, null, s9, v12, vcc_lo
	global_store_dwordx2 v[11:12], v[9:10], off
                                        ; implicit-def: $vgpr11
                                        ; implicit-def: $vgpr9_vgpr10
.LBB86_24:                              ;   in Loop: Header=BB86_10 Depth=1
	s_andn2_saveexec_b32 s11, s11
	s_cbranch_execz .LBB86_9
; %bb.25:                               ;   in Loop: Header=BB86_10 Depth=1
	v_lshlrev_b64 v[11:12], 3, v[11:12]
	v_add_co_u32 v11, vcc_lo, s8, v11
	v_add_co_ci_u32_e64 v12, null, s9, v12, vcc_lo
	global_load_dwordx2 v[13:14], v[11:12], off
	s_waitcnt vmcnt(0)
	v_fma_f64 v[9:10], v[3:4], v[13:14], v[9:10]
	global_store_dwordx2 v[11:12], v[9:10], off
	s_branch .LBB86_9
.LBB86_26:
	s_endpgm
	.section	.rodata,"a",@progbits
	.p2align	6, 0x0
	.amdhsa_kernel _ZN9rocsparseL22bsrxmvn_general_kernelILj1024ELj32EdlifddEEv20rocsparse_direction_NS_24const_host_device_scalarIT1_EET3_PKS5_PKT2_SA_S7_PKT4_S5_PKT5_S4_PT6_21rocsparse_index_base_b
		.amdhsa_group_segment_fixed_size 0
		.amdhsa_private_segment_fixed_size 0
		.amdhsa_kernarg_size 104
		.amdhsa_user_sgpr_count 6
		.amdhsa_user_sgpr_private_segment_buffer 1
		.amdhsa_user_sgpr_dispatch_ptr 0
		.amdhsa_user_sgpr_queue_ptr 0
		.amdhsa_user_sgpr_kernarg_segment_ptr 1
		.amdhsa_user_sgpr_dispatch_id 0
		.amdhsa_user_sgpr_flat_scratch_init 0
		.amdhsa_user_sgpr_private_segment_size 0
		.amdhsa_wavefront_size32 1
		.amdhsa_uses_dynamic_stack 0
		.amdhsa_system_sgpr_private_segment_wavefront_offset 0
		.amdhsa_system_sgpr_workgroup_id_x 1
		.amdhsa_system_sgpr_workgroup_id_y 0
		.amdhsa_system_sgpr_workgroup_id_z 0
		.amdhsa_system_sgpr_workgroup_info 0
		.amdhsa_system_vgpr_workitem_id 0
		.amdhsa_next_free_vgpr 29
		.amdhsa_next_free_sgpr 32
		.amdhsa_reserve_vcc 1
		.amdhsa_reserve_flat_scratch 0
		.amdhsa_float_round_mode_32 0
		.amdhsa_float_round_mode_16_64 0
		.amdhsa_float_denorm_mode_32 3
		.amdhsa_float_denorm_mode_16_64 3
		.amdhsa_dx10_clamp 1
		.amdhsa_ieee_mode 1
		.amdhsa_fp16_overflow 0
		.amdhsa_workgroup_processor_mode 1
		.amdhsa_memory_ordered 1
		.amdhsa_forward_progress 1
		.amdhsa_shared_vgpr_count 0
		.amdhsa_exception_fp_ieee_invalid_op 0
		.amdhsa_exception_fp_denorm_src 0
		.amdhsa_exception_fp_ieee_div_zero 0
		.amdhsa_exception_fp_ieee_overflow 0
		.amdhsa_exception_fp_ieee_underflow 0
		.amdhsa_exception_fp_ieee_inexact 0
		.amdhsa_exception_int_div_zero 0
	.end_amdhsa_kernel
	.section	.text._ZN9rocsparseL22bsrxmvn_general_kernelILj1024ELj32EdlifddEEv20rocsparse_direction_NS_24const_host_device_scalarIT1_EET3_PKS5_PKT2_SA_S7_PKT4_S5_PKT5_S4_PT6_21rocsparse_index_base_b,"axG",@progbits,_ZN9rocsparseL22bsrxmvn_general_kernelILj1024ELj32EdlifddEEv20rocsparse_direction_NS_24const_host_device_scalarIT1_EET3_PKS5_PKT2_SA_S7_PKT4_S5_PKT5_S4_PT6_21rocsparse_index_base_b,comdat
.Lfunc_end86:
	.size	_ZN9rocsparseL22bsrxmvn_general_kernelILj1024ELj32EdlifddEEv20rocsparse_direction_NS_24const_host_device_scalarIT1_EET3_PKS5_PKT2_SA_S7_PKT4_S5_PKT5_S4_PT6_21rocsparse_index_base_b, .Lfunc_end86-_ZN9rocsparseL22bsrxmvn_general_kernelILj1024ELj32EdlifddEEv20rocsparse_direction_NS_24const_host_device_scalarIT1_EET3_PKS5_PKT2_SA_S7_PKT4_S5_PKT5_S4_PT6_21rocsparse_index_base_b
                                        ; -- End function
	.set _ZN9rocsparseL22bsrxmvn_general_kernelILj1024ELj32EdlifddEEv20rocsparse_direction_NS_24const_host_device_scalarIT1_EET3_PKS5_PKT2_SA_S7_PKT4_S5_PKT5_S4_PT6_21rocsparse_index_base_b.num_vgpr, 29
	.set _ZN9rocsparseL22bsrxmvn_general_kernelILj1024ELj32EdlifddEEv20rocsparse_direction_NS_24const_host_device_scalarIT1_EET3_PKS5_PKT2_SA_S7_PKT4_S5_PKT5_S4_PT6_21rocsparse_index_base_b.num_agpr, 0
	.set _ZN9rocsparseL22bsrxmvn_general_kernelILj1024ELj32EdlifddEEv20rocsparse_direction_NS_24const_host_device_scalarIT1_EET3_PKS5_PKT2_SA_S7_PKT4_S5_PKT5_S4_PT6_21rocsparse_index_base_b.numbered_sgpr, 32
	.set _ZN9rocsparseL22bsrxmvn_general_kernelILj1024ELj32EdlifddEEv20rocsparse_direction_NS_24const_host_device_scalarIT1_EET3_PKS5_PKT2_SA_S7_PKT4_S5_PKT5_S4_PT6_21rocsparse_index_base_b.num_named_barrier, 0
	.set _ZN9rocsparseL22bsrxmvn_general_kernelILj1024ELj32EdlifddEEv20rocsparse_direction_NS_24const_host_device_scalarIT1_EET3_PKS5_PKT2_SA_S7_PKT4_S5_PKT5_S4_PT6_21rocsparse_index_base_b.private_seg_size, 0
	.set _ZN9rocsparseL22bsrxmvn_general_kernelILj1024ELj32EdlifddEEv20rocsparse_direction_NS_24const_host_device_scalarIT1_EET3_PKS5_PKT2_SA_S7_PKT4_S5_PKT5_S4_PT6_21rocsparse_index_base_b.uses_vcc, 1
	.set _ZN9rocsparseL22bsrxmvn_general_kernelILj1024ELj32EdlifddEEv20rocsparse_direction_NS_24const_host_device_scalarIT1_EET3_PKS5_PKT2_SA_S7_PKT4_S5_PKT5_S4_PT6_21rocsparse_index_base_b.uses_flat_scratch, 0
	.set _ZN9rocsparseL22bsrxmvn_general_kernelILj1024ELj32EdlifddEEv20rocsparse_direction_NS_24const_host_device_scalarIT1_EET3_PKS5_PKT2_SA_S7_PKT4_S5_PKT5_S4_PT6_21rocsparse_index_base_b.has_dyn_sized_stack, 0
	.set _ZN9rocsparseL22bsrxmvn_general_kernelILj1024ELj32EdlifddEEv20rocsparse_direction_NS_24const_host_device_scalarIT1_EET3_PKS5_PKT2_SA_S7_PKT4_S5_PKT5_S4_PT6_21rocsparse_index_base_b.has_recursion, 0
	.set _ZN9rocsparseL22bsrxmvn_general_kernelILj1024ELj32EdlifddEEv20rocsparse_direction_NS_24const_host_device_scalarIT1_EET3_PKS5_PKT2_SA_S7_PKT4_S5_PKT5_S4_PT6_21rocsparse_index_base_b.has_indirect_call, 0
	.section	.AMDGPU.csdata,"",@progbits
; Kernel info:
; codeLenInByte = 1232
; TotalNumSgprs: 34
; NumVgprs: 29
; ScratchSize: 0
; MemoryBound: 0
; FloatMode: 240
; IeeeMode: 1
; LDSByteSize: 0 bytes/workgroup (compile time only)
; SGPRBlocks: 0
; VGPRBlocks: 3
; NumSGPRsForWavesPerEU: 34
; NumVGPRsForWavesPerEU: 29
; Occupancy: 16
; WaveLimiterHint : 1
; COMPUTE_PGM_RSRC2:SCRATCH_EN: 0
; COMPUTE_PGM_RSRC2:USER_SGPR: 6
; COMPUTE_PGM_RSRC2:TRAP_HANDLER: 0
; COMPUTE_PGM_RSRC2:TGID_X_EN: 1
; COMPUTE_PGM_RSRC2:TGID_Y_EN: 0
; COMPUTE_PGM_RSRC2:TGID_Z_EN: 0
; COMPUTE_PGM_RSRC2:TIDIG_COMP_CNT: 0
	.section	.text._ZN9rocsparseL22bsrxmvn_general_kernelILj64ELj8EdllfddEEv20rocsparse_direction_NS_24const_host_device_scalarIT1_EET3_PKS5_PKT2_SA_S7_PKT4_S5_PKT5_S4_PT6_21rocsparse_index_base_b,"axG",@progbits,_ZN9rocsparseL22bsrxmvn_general_kernelILj64ELj8EdllfddEEv20rocsparse_direction_NS_24const_host_device_scalarIT1_EET3_PKS5_PKT2_SA_S7_PKT4_S5_PKT5_S4_PT6_21rocsparse_index_base_b,comdat
	.globl	_ZN9rocsparseL22bsrxmvn_general_kernelILj64ELj8EdllfddEEv20rocsparse_direction_NS_24const_host_device_scalarIT1_EET3_PKS5_PKT2_SA_S7_PKT4_S5_PKT5_S4_PT6_21rocsparse_index_base_b ; -- Begin function _ZN9rocsparseL22bsrxmvn_general_kernelILj64ELj8EdllfddEEv20rocsparse_direction_NS_24const_host_device_scalarIT1_EET3_PKS5_PKT2_SA_S7_PKT4_S5_PKT5_S4_PT6_21rocsparse_index_base_b
	.p2align	8
	.type	_ZN9rocsparseL22bsrxmvn_general_kernelILj64ELj8EdllfddEEv20rocsparse_direction_NS_24const_host_device_scalarIT1_EET3_PKS5_PKT2_SA_S7_PKT4_S5_PKT5_S4_PT6_21rocsparse_index_base_b,@function
_ZN9rocsparseL22bsrxmvn_general_kernelILj64ELj8EdllfddEEv20rocsparse_direction_NS_24const_host_device_scalarIT1_EET3_PKS5_PKT2_SA_S7_PKT4_S5_PKT5_S4_PT6_21rocsparse_index_base_b: ; @_ZN9rocsparseL22bsrxmvn_general_kernelILj64ELj8EdllfddEEv20rocsparse_direction_NS_24const_host_device_scalarIT1_EET3_PKS5_PKT2_SA_S7_PKT4_S5_PKT5_S4_PT6_21rocsparse_index_base_b
; %bb.0:
	s_clause 0x2
	s_load_dwordx2 s[16:17], s[4:5], 0x60
	s_load_dwordx2 s[2:3], s[4:5], 0x8
	s_load_dwordx2 s[0:1], s[4:5], 0x50
	s_waitcnt lgkmcnt(0)
	s_bitcmp1_b32 s17, 0
	v_mov_b32_e32 v1, s2
	v_mov_b32_e32 v2, s3
	s_cselect_b32 s7, -1, 0
	s_and_b32 vcc_lo, exec_lo, s7
	s_xor_b32 s7, s7, -1
	s_cbranch_vccnz .LBB87_2
; %bb.1:
	v_mov_b32_e32 v1, s2
	v_mov_b32_e32 v2, s3
	flat_load_dwordx2 v[1:2], v[1:2]
.LBB87_2:
	v_mov_b32_e32 v4, s1
	v_mov_b32_e32 v3, s0
	s_andn2_b32 vcc_lo, exec_lo, s7
	s_cbranch_vccnz .LBB87_4
; %bb.3:
	v_mov_b32_e32 v4, s1
	v_mov_b32_e32 v3, s0
	flat_load_dwordx2 v[3:4], v[3:4]
.LBB87_4:
	s_waitcnt vmcnt(0) lgkmcnt(0)
	v_cmp_neq_f64_e32 vcc_lo, 0, v[1:2]
	v_cmp_neq_f64_e64 s0, 1.0, v[3:4]
	s_or_b32 s0, vcc_lo, s0
	s_and_saveexec_b32 s1, s0
	s_cbranch_execz .LBB87_26
; %bb.5:
	s_load_dwordx2 s[0:1], s[4:5], 0x18
	s_mov_b32 s7, 0
	s_waitcnt lgkmcnt(0)
	s_cmp_eq_u64 s[0:1], 0
	s_cbranch_scc1 .LBB87_7
; %bb.6:
	s_lshl_b64 s[2:3], s[6:7], 3
	s_add_u32 s0, s0, s2
	s_addc_u32 s1, s1, s3
	s_load_dwordx2 s[0:1], s[0:1], 0x0
	s_waitcnt lgkmcnt(0)
	s_sub_u32 s6, s0, s16
	s_subb_u32 s7, s1, 0
.LBB87_7:
	s_load_dwordx2 s[18:19], s[4:5], 0x40
	v_lshrrev_b32_e32 v5, 3, v0
	v_mov_b32_e32 v6, 0
	s_waitcnt lgkmcnt(0)
	v_cmp_gt_i64_e32 vcc_lo, s[18:19], v[5:6]
	s_and_b32 exec_lo, exec_lo, vcc_lo
	s_cbranch_execz .LBB87_26
; %bb.8:
	s_load_dwordx8 s[8:15], s[4:5], 0x20
	s_lshl_b64 s[2:3], s[6:7], 3
	v_and_b32_e32 v7, 7, v0
	v_mbcnt_lo_u32_b32 v0, -1, 0
	s_load_dword s27, s[4:5], 0x0
	s_mul_i32 s28, s6, s19
	s_mul_hi_u32 s29, s6, s18
	s_mul_i32 s26, s6, s18
	v_xor_b32_e32 v9, 4, v0
	s_mul_i32 s30, s7, s18
	v_xor_b32_e32 v10, 2, v0
	v_xor_b32_e32 v11, 1, v0
	v_cmp_eq_f64_e64 s0, 0, v[3:4]
	v_cmp_gt_i32_e32 vcc_lo, 32, v9
	v_lshlrev_b32_e32 v12, 3, v7
	v_mov_b32_e32 v8, v6
	s_mul_i32 s31, s18, s19
	s_mul_hi_u32 s33, s18, s18
	v_cndmask_b32_e32 v13, v0, v9, vcc_lo
	v_cmp_gt_i32_e32 vcc_lo, 32, v10
	s_waitcnt lgkmcnt(0)
	s_add_u32 s24, s8, s2
	s_addc_u32 s25, s9, s3
	v_cmp_gt_u64_e64 s1, s[18:19], v[7:8]
	s_load_dwordx2 s[20:21], s[24:25], 0x0
	s_clause 0x1
	s_load_dwordx2 s[8:9], s[4:5], 0x58
	s_load_dwordx2 s[22:23], s[4:5], 0x48
	v_cndmask_b32_e32 v14, v0, v10, vcc_lo
	v_cmp_gt_i32_e32 vcc_lo, 32, v11
	s_mov_b32 s17, 0
	v_lshlrev_b32_e32 v23, 2, v14
	v_cndmask_b32_e32 v11, v0, v11, vcc_lo
	v_lshlrev_b32_e32 v0, 2, v13
	v_lshlrev_b32_e32 v24, 2, v11
	s_waitcnt lgkmcnt(0)
	s_sub_u32 s4, s20, s16
	s_subb_u32 s5, s21, 0
	s_add_u32 s6, s24, 8
	s_addc_u32 s7, s25, 0
	s_add_u32 s2, s10, s2
	s_addc_u32 s3, s11, s3
	s_cmp_eq_u64 s[10:11], 0
	v_mad_u64_u32 v[9:10], null, s18, s4, v[5:6]
	s_cselect_b32 s3, s7, s3
	s_cselect_b32 s2, s6, s2
	s_mul_i32 s6, s18, s5
	s_load_dwordx2 s[10:11], s[2:3], 0x0
	s_mul_i32 s3, s19, s4
	v_cmp_eq_u32_e64 s2, 7, v7
	v_add3_u32 v11, s6, s3, v10
	v_mul_lo_u32 v13, s19, v9
	v_mad_u64_u32 v[9:10], null, s18, v9, 0
	s_mul_i32 s25, s18, s18
	v_mul_lo_u32 v14, s18, v11
	v_add_co_u32 v11, s22, s22, v12
	v_add_co_ci_u32_e64 v12, null, s23, 0, s22
	v_add3_u32 v10, v10, v14, v13
	s_waitcnt lgkmcnt(0)
	s_sub_u32 s6, s10, s16
	s_subb_u32 s7, s11, 0
	s_cmp_lg_u32 s27, 0
	v_cmp_lt_i64_e64 s20, s[20:21], s[10:11]
	s_cselect_b32 s24, -1, 0
	s_add_i32 s3, s29, s28
	s_add_i32 s27, s3, s30
	s_lshl_b64 s[22:23], s[26:27], 3
	s_add_u32 s21, s8, s22
	s_addc_u32 s22, s9, s23
	s_add_i32 s3, s33, s31
	s_lshl_b64 s[8:9], s[18:19], 3
	s_add_i32 s23, s3, s31
	s_branch .LBB87_10
.LBB87_9:                               ;   in Loop: Header=BB87_10 Depth=1
	s_or_b32 exec_lo, exec_lo, s3
	v_add_co_u32 v5, vcc_lo, v5, 8
	v_add_co_ci_u32_e64 v6, null, 0, v6, vcc_lo
	v_add_co_u32 v9, s3, v9, s8
	v_add_co_ci_u32_e64 v10, null, s9, v10, s3
	v_cmp_le_i64_e32 vcc_lo, s[18:19], v[5:6]
	s_or_b32 s17, vcc_lo, s17
	s_andn2_b32 exec_lo, exec_lo, s17
	s_cbranch_execz .LBB87_26
.LBB87_10:                              ; =>This Loop Header: Depth=1
                                        ;     Child Loop BB87_14 Depth 2
                                        ;       Child Loop BB87_17 Depth 3
	v_mov_b32_e32 v13, 0
	v_mov_b32_e32 v14, 0
	s_andn2_b32 vcc_lo, exec_lo, s20
	s_cbranch_vccnz .LBB87_21
; %bb.11:                               ;   in Loop: Header=BB87_10 Depth=1
	v_mov_b32_e32 v13, 0
	s_waitcnt lgkmcnt(0)
	v_mov_b32_e32 v16, v10
	v_mov_b32_e32 v14, 0
	;; [unrolled: 1-line block ×3, first 2 shown]
	s_mov_b64 s[10:11], s[4:5]
	s_branch .LBB87_14
.LBB87_12:                              ;   in Loop: Header=BB87_14 Depth=2
	s_or_b32 exec_lo, exec_lo, s28
.LBB87_13:                              ;   in Loop: Header=BB87_14 Depth=2
	s_or_b32 exec_lo, exec_lo, s26
	s_add_u32 s10, s10, 1
	s_addc_u32 s11, s11, 0
	v_add_co_u32 v15, vcc_lo, v15, s25
	v_cmp_ge_i64_e64 s3, s[10:11], s[6:7]
	v_add_co_ci_u32_e64 v16, null, s23, v16, vcc_lo
	s_and_b32 vcc_lo, exec_lo, s3
	s_cbranch_vccnz .LBB87_21
.LBB87_14:                              ;   Parent Loop BB87_10 Depth=1
                                        ; =>  This Loop Header: Depth=2
                                        ;       Child Loop BB87_17 Depth 3
	s_and_saveexec_b32 s26, s1
	s_cbranch_execz .LBB87_13
; %bb.15:                               ;   in Loop: Header=BB87_14 Depth=2
	s_lshl_b64 s[28:29], s[10:11], 3
	s_mul_i32 s27, s10, s19
	s_add_u32 s28, s12, s28
	s_addc_u32 s29, s13, s29
	v_mov_b32_e32 v20, v8
	s_load_dwordx2 s[28:29], s[28:29], 0x0
	v_mov_b32_e32 v19, v7
	s_mul_i32 s30, s11, s18
	s_waitcnt lgkmcnt(0)
	s_sub_u32 s3, s28, s16
	s_subb_u32 s29, s29, 0
	v_mad_u64_u32 v[17:18], null, s8, s3, v[11:12]
	s_mul_i32 s3, s9, s3
	s_mul_i32 s29, s8, s29
	s_mul_hi_u32 s28, s10, s18
	s_add_i32 s27, s28, s27
	s_mov_b32 s28, 0
	v_add3_u32 v18, s29, s3, v18
	s_add_i32 s27, s27, s30
	s_mul_i32 s29, s10, s18
	s_branch .LBB87_17
.LBB87_16:                              ;   in Loop: Header=BB87_17 Depth=3
	v_lshlrev_b64 v[21:22], 2, v[21:22]
	v_add_co_u32 v21, vcc_lo, s14, v21
	v_add_co_ci_u32_e64 v22, null, s15, v22, vcc_lo
	v_add_co_u32 v19, vcc_lo, v19, 8
	v_add_co_ci_u32_e64 v20, null, 0, v20, vcc_lo
	global_load_dword v25, v[21:22], off
	global_load_dwordx2 v[21:22], v[17:18], off
	v_add_co_u32 v17, s3, v17, 64
	v_cmp_le_i64_e32 vcc_lo, s[18:19], v[19:20]
	v_add_co_ci_u32_e64 v18, null, 0, v18, s3
	s_or_b32 s28, vcc_lo, s28
	s_waitcnt vmcnt(1)
	v_cvt_f64_f32_e32 v[25:26], v25
	s_waitcnt vmcnt(0)
	v_fma_f64 v[13:14], v[25:26], v[21:22], v[13:14]
	s_andn2_b32 exec_lo, exec_lo, s28
	s_cbranch_execz .LBB87_12
.LBB87_17:                              ;   Parent Loop BB87_10 Depth=1
                                        ;     Parent Loop BB87_14 Depth=2
                                        ; =>    This Inner Loop Header: Depth=3
	s_and_b32 vcc_lo, exec_lo, s24
	s_cbranch_vccz .LBB87_19
; %bb.18:                               ;   in Loop: Header=BB87_17 Depth=3
	v_add_co_u32 v21, vcc_lo, v19, s29
	v_add_co_ci_u32_e64 v22, null, s27, v20, vcc_lo
	v_mul_lo_u32 v25, v21, s19
	v_mul_lo_u32 v26, v22, s18
	v_mad_u64_u32 v[21:22], null, v21, s18, v[5:6]
	v_add3_u32 v22, v26, v22, v25
	s_cbranch_execnz .LBB87_16
	s_branch .LBB87_20
.LBB87_19:                              ;   in Loop: Header=BB87_17 Depth=3
                                        ; implicit-def: $vgpr21_vgpr22
.LBB87_20:                              ;   in Loop: Header=BB87_17 Depth=3
	v_add_co_u32 v21, vcc_lo, v15, v19
	v_add_co_ci_u32_e64 v22, null, v16, v20, vcc_lo
	s_branch .LBB87_16
.LBB87_21:                              ;   in Loop: Header=BB87_10 Depth=1
	s_waitcnt lgkmcnt(1)
	ds_bpermute_b32 v15, v0, v13
	s_waitcnt lgkmcnt(1)
	ds_bpermute_b32 v16, v0, v14
	s_waitcnt lgkmcnt(0)
	v_add_f64 v[13:14], v[13:14], v[15:16]
	ds_bpermute_b32 v15, v23, v13
	ds_bpermute_b32 v16, v23, v14
	s_waitcnt lgkmcnt(0)
	v_add_f64 v[13:14], v[13:14], v[15:16]
	ds_bpermute_b32 v15, v24, v13
	ds_bpermute_b32 v16, v24, v14
	s_and_saveexec_b32 s3, s2
	s_cbranch_execz .LBB87_9
; %bb.22:                               ;   in Loop: Header=BB87_10 Depth=1
	s_waitcnt lgkmcnt(0)
	v_add_f64 v[13:14], v[13:14], v[15:16]
	v_lshlrev_b64 v[15:16], 3, v[5:6]
	v_mul_f64 v[13:14], v[1:2], v[13:14]
	s_and_saveexec_b32 s10, s0
	s_xor_b32 s10, exec_lo, s10
	s_cbranch_execz .LBB87_24
; %bb.23:                               ;   in Loop: Header=BB87_10 Depth=1
	v_add_co_u32 v15, vcc_lo, s21, v15
	v_add_co_ci_u32_e64 v16, null, s22, v16, vcc_lo
	global_store_dwordx2 v[15:16], v[13:14], off
                                        ; implicit-def: $vgpr15_vgpr16
                                        ; implicit-def: $vgpr13_vgpr14
.LBB87_24:                              ;   in Loop: Header=BB87_10 Depth=1
	s_andn2_saveexec_b32 s10, s10
	s_cbranch_execz .LBB87_9
; %bb.25:                               ;   in Loop: Header=BB87_10 Depth=1
	v_add_co_u32 v15, vcc_lo, s21, v15
	v_add_co_ci_u32_e64 v16, null, s22, v16, vcc_lo
	global_load_dwordx2 v[17:18], v[15:16], off
	s_waitcnt vmcnt(0)
	v_fma_f64 v[13:14], v[3:4], v[17:18], v[13:14]
	global_store_dwordx2 v[15:16], v[13:14], off
	s_branch .LBB87_9
.LBB87_26:
	s_endpgm
	.section	.rodata,"a",@progbits
	.p2align	6, 0x0
	.amdhsa_kernel _ZN9rocsparseL22bsrxmvn_general_kernelILj64ELj8EdllfddEEv20rocsparse_direction_NS_24const_host_device_scalarIT1_EET3_PKS5_PKT2_SA_S7_PKT4_S5_PKT5_S4_PT6_21rocsparse_index_base_b
		.amdhsa_group_segment_fixed_size 0
		.amdhsa_private_segment_fixed_size 0
		.amdhsa_kernarg_size 104
		.amdhsa_user_sgpr_count 6
		.amdhsa_user_sgpr_private_segment_buffer 1
		.amdhsa_user_sgpr_dispatch_ptr 0
		.amdhsa_user_sgpr_queue_ptr 0
		.amdhsa_user_sgpr_kernarg_segment_ptr 1
		.amdhsa_user_sgpr_dispatch_id 0
		.amdhsa_user_sgpr_flat_scratch_init 0
		.amdhsa_user_sgpr_private_segment_size 0
		.amdhsa_wavefront_size32 1
		.amdhsa_uses_dynamic_stack 0
		.amdhsa_system_sgpr_private_segment_wavefront_offset 0
		.amdhsa_system_sgpr_workgroup_id_x 1
		.amdhsa_system_sgpr_workgroup_id_y 0
		.amdhsa_system_sgpr_workgroup_id_z 0
		.amdhsa_system_sgpr_workgroup_info 0
		.amdhsa_system_vgpr_workitem_id 0
		.amdhsa_next_free_vgpr 27
		.amdhsa_next_free_sgpr 34
		.amdhsa_reserve_vcc 1
		.amdhsa_reserve_flat_scratch 0
		.amdhsa_float_round_mode_32 0
		.amdhsa_float_round_mode_16_64 0
		.amdhsa_float_denorm_mode_32 3
		.amdhsa_float_denorm_mode_16_64 3
		.amdhsa_dx10_clamp 1
		.amdhsa_ieee_mode 1
		.amdhsa_fp16_overflow 0
		.amdhsa_workgroup_processor_mode 1
		.amdhsa_memory_ordered 1
		.amdhsa_forward_progress 1
		.amdhsa_shared_vgpr_count 0
		.amdhsa_exception_fp_ieee_invalid_op 0
		.amdhsa_exception_fp_denorm_src 0
		.amdhsa_exception_fp_ieee_div_zero 0
		.amdhsa_exception_fp_ieee_overflow 0
		.amdhsa_exception_fp_ieee_underflow 0
		.amdhsa_exception_fp_ieee_inexact 0
		.amdhsa_exception_int_div_zero 0
	.end_amdhsa_kernel
	.section	.text._ZN9rocsparseL22bsrxmvn_general_kernelILj64ELj8EdllfddEEv20rocsparse_direction_NS_24const_host_device_scalarIT1_EET3_PKS5_PKT2_SA_S7_PKT4_S5_PKT5_S4_PT6_21rocsparse_index_base_b,"axG",@progbits,_ZN9rocsparseL22bsrxmvn_general_kernelILj64ELj8EdllfddEEv20rocsparse_direction_NS_24const_host_device_scalarIT1_EET3_PKS5_PKT2_SA_S7_PKT4_S5_PKT5_S4_PT6_21rocsparse_index_base_b,comdat
.Lfunc_end87:
	.size	_ZN9rocsparseL22bsrxmvn_general_kernelILj64ELj8EdllfddEEv20rocsparse_direction_NS_24const_host_device_scalarIT1_EET3_PKS5_PKT2_SA_S7_PKT4_S5_PKT5_S4_PT6_21rocsparse_index_base_b, .Lfunc_end87-_ZN9rocsparseL22bsrxmvn_general_kernelILj64ELj8EdllfddEEv20rocsparse_direction_NS_24const_host_device_scalarIT1_EET3_PKS5_PKT2_SA_S7_PKT4_S5_PKT5_S4_PT6_21rocsparse_index_base_b
                                        ; -- End function
	.set _ZN9rocsparseL22bsrxmvn_general_kernelILj64ELj8EdllfddEEv20rocsparse_direction_NS_24const_host_device_scalarIT1_EET3_PKS5_PKT2_SA_S7_PKT4_S5_PKT5_S4_PT6_21rocsparse_index_base_b.num_vgpr, 27
	.set _ZN9rocsparseL22bsrxmvn_general_kernelILj64ELj8EdllfddEEv20rocsparse_direction_NS_24const_host_device_scalarIT1_EET3_PKS5_PKT2_SA_S7_PKT4_S5_PKT5_S4_PT6_21rocsparse_index_base_b.num_agpr, 0
	.set _ZN9rocsparseL22bsrxmvn_general_kernelILj64ELj8EdllfddEEv20rocsparse_direction_NS_24const_host_device_scalarIT1_EET3_PKS5_PKT2_SA_S7_PKT4_S5_PKT5_S4_PT6_21rocsparse_index_base_b.numbered_sgpr, 34
	.set _ZN9rocsparseL22bsrxmvn_general_kernelILj64ELj8EdllfddEEv20rocsparse_direction_NS_24const_host_device_scalarIT1_EET3_PKS5_PKT2_SA_S7_PKT4_S5_PKT5_S4_PT6_21rocsparse_index_base_b.num_named_barrier, 0
	.set _ZN9rocsparseL22bsrxmvn_general_kernelILj64ELj8EdllfddEEv20rocsparse_direction_NS_24const_host_device_scalarIT1_EET3_PKS5_PKT2_SA_S7_PKT4_S5_PKT5_S4_PT6_21rocsparse_index_base_b.private_seg_size, 0
	.set _ZN9rocsparseL22bsrxmvn_general_kernelILj64ELj8EdllfddEEv20rocsparse_direction_NS_24const_host_device_scalarIT1_EET3_PKS5_PKT2_SA_S7_PKT4_S5_PKT5_S4_PT6_21rocsparse_index_base_b.uses_vcc, 1
	.set _ZN9rocsparseL22bsrxmvn_general_kernelILj64ELj8EdllfddEEv20rocsparse_direction_NS_24const_host_device_scalarIT1_EET3_PKS5_PKT2_SA_S7_PKT4_S5_PKT5_S4_PT6_21rocsparse_index_base_b.uses_flat_scratch, 0
	.set _ZN9rocsparseL22bsrxmvn_general_kernelILj64ELj8EdllfddEEv20rocsparse_direction_NS_24const_host_device_scalarIT1_EET3_PKS5_PKT2_SA_S7_PKT4_S5_PKT5_S4_PT6_21rocsparse_index_base_b.has_dyn_sized_stack, 0
	.set _ZN9rocsparseL22bsrxmvn_general_kernelILj64ELj8EdllfddEEv20rocsparse_direction_NS_24const_host_device_scalarIT1_EET3_PKS5_PKT2_SA_S7_PKT4_S5_PKT5_S4_PT6_21rocsparse_index_base_b.has_recursion, 0
	.set _ZN9rocsparseL22bsrxmvn_general_kernelILj64ELj8EdllfddEEv20rocsparse_direction_NS_24const_host_device_scalarIT1_EET3_PKS5_PKT2_SA_S7_PKT4_S5_PKT5_S4_PT6_21rocsparse_index_base_b.has_indirect_call, 0
	.section	.AMDGPU.csdata,"",@progbits
; Kernel info:
; codeLenInByte = 1244
; TotalNumSgprs: 36
; NumVgprs: 27
; ScratchSize: 0
; MemoryBound: 0
; FloatMode: 240
; IeeeMode: 1
; LDSByteSize: 0 bytes/workgroup (compile time only)
; SGPRBlocks: 0
; VGPRBlocks: 3
; NumSGPRsForWavesPerEU: 36
; NumVGPRsForWavesPerEU: 27
; Occupancy: 16
; WaveLimiterHint : 1
; COMPUTE_PGM_RSRC2:SCRATCH_EN: 0
; COMPUTE_PGM_RSRC2:USER_SGPR: 6
; COMPUTE_PGM_RSRC2:TRAP_HANDLER: 0
; COMPUTE_PGM_RSRC2:TGID_X_EN: 1
; COMPUTE_PGM_RSRC2:TGID_Y_EN: 0
; COMPUTE_PGM_RSRC2:TGID_Z_EN: 0
; COMPUTE_PGM_RSRC2:TIDIG_COMP_CNT: 0
	.section	.text._ZN9rocsparseL22bsrxmvn_general_kernelILj256ELj16EdllfddEEv20rocsparse_direction_NS_24const_host_device_scalarIT1_EET3_PKS5_PKT2_SA_S7_PKT4_S5_PKT5_S4_PT6_21rocsparse_index_base_b,"axG",@progbits,_ZN9rocsparseL22bsrxmvn_general_kernelILj256ELj16EdllfddEEv20rocsparse_direction_NS_24const_host_device_scalarIT1_EET3_PKS5_PKT2_SA_S7_PKT4_S5_PKT5_S4_PT6_21rocsparse_index_base_b,comdat
	.globl	_ZN9rocsparseL22bsrxmvn_general_kernelILj256ELj16EdllfddEEv20rocsparse_direction_NS_24const_host_device_scalarIT1_EET3_PKS5_PKT2_SA_S7_PKT4_S5_PKT5_S4_PT6_21rocsparse_index_base_b ; -- Begin function _ZN9rocsparseL22bsrxmvn_general_kernelILj256ELj16EdllfddEEv20rocsparse_direction_NS_24const_host_device_scalarIT1_EET3_PKS5_PKT2_SA_S7_PKT4_S5_PKT5_S4_PT6_21rocsparse_index_base_b
	.p2align	8
	.type	_ZN9rocsparseL22bsrxmvn_general_kernelILj256ELj16EdllfddEEv20rocsparse_direction_NS_24const_host_device_scalarIT1_EET3_PKS5_PKT2_SA_S7_PKT4_S5_PKT5_S4_PT6_21rocsparse_index_base_b,@function
_ZN9rocsparseL22bsrxmvn_general_kernelILj256ELj16EdllfddEEv20rocsparse_direction_NS_24const_host_device_scalarIT1_EET3_PKS5_PKT2_SA_S7_PKT4_S5_PKT5_S4_PT6_21rocsparse_index_base_b: ; @_ZN9rocsparseL22bsrxmvn_general_kernelILj256ELj16EdllfddEEv20rocsparse_direction_NS_24const_host_device_scalarIT1_EET3_PKS5_PKT2_SA_S7_PKT4_S5_PKT5_S4_PT6_21rocsparse_index_base_b
; %bb.0:
	s_clause 0x2
	s_load_dwordx2 s[16:17], s[4:5], 0x60
	s_load_dwordx2 s[2:3], s[4:5], 0x8
	;; [unrolled: 1-line block ×3, first 2 shown]
	s_waitcnt lgkmcnt(0)
	s_bitcmp1_b32 s17, 0
	v_mov_b32_e32 v1, s2
	v_mov_b32_e32 v2, s3
	s_cselect_b32 s7, -1, 0
	s_and_b32 vcc_lo, exec_lo, s7
	s_xor_b32 s7, s7, -1
	s_cbranch_vccnz .LBB88_2
; %bb.1:
	v_mov_b32_e32 v1, s2
	v_mov_b32_e32 v2, s3
	flat_load_dwordx2 v[1:2], v[1:2]
.LBB88_2:
	v_mov_b32_e32 v4, s1
	v_mov_b32_e32 v3, s0
	s_andn2_b32 vcc_lo, exec_lo, s7
	s_cbranch_vccnz .LBB88_4
; %bb.3:
	v_mov_b32_e32 v4, s1
	v_mov_b32_e32 v3, s0
	flat_load_dwordx2 v[3:4], v[3:4]
.LBB88_4:
	s_waitcnt vmcnt(0) lgkmcnt(0)
	v_cmp_neq_f64_e32 vcc_lo, 0, v[1:2]
	v_cmp_neq_f64_e64 s0, 1.0, v[3:4]
	s_or_b32 s0, vcc_lo, s0
	s_and_saveexec_b32 s1, s0
	s_cbranch_execz .LBB88_26
; %bb.5:
	s_load_dwordx2 s[0:1], s[4:5], 0x18
	s_mov_b32 s7, 0
	s_waitcnt lgkmcnt(0)
	s_cmp_eq_u64 s[0:1], 0
	s_cbranch_scc1 .LBB88_7
; %bb.6:
	s_lshl_b64 s[2:3], s[6:7], 3
	s_add_u32 s0, s0, s2
	s_addc_u32 s1, s1, s3
	s_load_dwordx2 s[0:1], s[0:1], 0x0
	s_waitcnt lgkmcnt(0)
	s_sub_u32 s6, s0, s16
	s_subb_u32 s7, s1, 0
.LBB88_7:
	s_load_dwordx2 s[18:19], s[4:5], 0x40
	v_lshrrev_b32_e32 v5, 4, v0
	v_mov_b32_e32 v6, 0
	s_waitcnt lgkmcnt(0)
	v_cmp_gt_i64_e32 vcc_lo, s[18:19], v[5:6]
	s_and_b32 exec_lo, exec_lo, vcc_lo
	s_cbranch_execz .LBB88_26
; %bb.8:
	s_load_dwordx8 s[8:15], s[4:5], 0x20
	s_lshl_b64 s[2:3], s[6:7], 3
	v_and_b32_e32 v7, 15, v0
	v_mbcnt_lo_u32_b32 v0, -1, 0
	s_load_dword s27, s[4:5], 0x0
	s_mul_i32 s28, s6, s19
	s_mul_hi_u32 s29, s6, s18
	s_mul_i32 s26, s6, s18
	v_xor_b32_e32 v9, 8, v0
	s_mul_i32 s30, s7, s18
	v_xor_b32_e32 v10, 4, v0
	v_xor_b32_e32 v11, 2, v0
	v_xor_b32_e32 v12, 1, v0
	v_cmp_gt_i32_e32 vcc_lo, 32, v9
	v_cmp_eq_f64_e64 s0, 0, v[3:4]
	v_lshlrev_b32_e32 v13, 3, v7
	v_mov_b32_e32 v8, v6
	s_mul_i32 s31, s18, s19
	v_cndmask_b32_e32 v14, v0, v9, vcc_lo
	v_cmp_gt_i32_e32 vcc_lo, 32, v10
	s_waitcnt lgkmcnt(0)
	s_add_u32 s24, s8, s2
	s_addc_u32 s25, s9, s3
	s_mul_hi_u32 s33, s18, s18
	s_load_dwordx2 s[20:21], s[24:25], 0x0
	s_clause 0x1
	s_load_dwordx2 s[8:9], s[4:5], 0x58
	s_load_dwordx2 s[22:23], s[4:5], 0x48
	v_cndmask_b32_e32 v15, v0, v10, vcc_lo
	v_cmp_gt_i32_e32 vcc_lo, 32, v11
	v_cmp_gt_u64_e64 s1, s[18:19], v[7:8]
	s_mov_b32 s17, 0
	v_lshlrev_b32_e32 v23, 2, v15
	v_cndmask_b32_e32 v11, v0, v11, vcc_lo
	v_cmp_gt_i32_e32 vcc_lo, 32, v12
	v_lshlrev_b32_e32 v24, 2, v11
	v_cndmask_b32_e32 v12, v0, v12, vcc_lo
	v_lshlrev_b32_e32 v0, 2, v14
	v_lshlrev_b32_e32 v25, 2, v12
	s_waitcnt lgkmcnt(0)
	s_sub_u32 s4, s20, s16
	s_subb_u32 s5, s21, 0
	s_add_u32 s6, s24, 8
	s_addc_u32 s7, s25, 0
	s_add_u32 s24, s10, s2
	s_addc_u32 s3, s11, s3
	s_cmp_eq_u64 s[10:11], 0
	v_mad_u64_u32 v[9:10], null, s18, s4, v[5:6]
	s_cselect_b32 s7, s7, s3
	s_cselect_b32 s6, s6, s24
	s_mul_i32 s3, s19, s4
	s_load_dwordx2 s[10:11], s[6:7], 0x0
	s_mul_i32 s6, s18, s5
	v_cmp_eq_u32_e64 s2, 15, v7
	v_add3_u32 v11, s6, s3, v10
	v_mul_lo_u32 v14, s19, v9
	v_mad_u64_u32 v[9:10], null, s18, v9, 0
	v_mul_lo_u32 v15, s18, v11
	v_add_co_u32 v11, s22, s22, v13
	v_add_co_ci_u32_e64 v12, null, s23, 0, s22
	v_add3_u32 v10, v10, v15, v14
	s_waitcnt lgkmcnt(0)
	s_sub_u32 s6, s10, s16
	s_subb_u32 s7, s11, 0
	s_cmp_lg_u32 s27, 0
	v_cmp_lt_i64_e64 s22, s[20:21], s[10:11]
	s_cselect_b32 s24, -1, 0
	s_add_i32 s3, s29, s28
	s_add_i32 s27, s3, s30
	s_lshl_b64 s[26:27], s[26:27], 3
	s_add_u32 s23, s8, s26
	s_addc_u32 s25, s9, s27
	s_add_i32 s3, s33, s31
	s_lshl_b64 s[8:9], s[18:19], 3
	s_lshl_b64 s[10:11], s[18:19], 4
	s_add_i32 s26, s3, s31
	s_mul_i32 s27, s18, s18
	s_branch .LBB88_10
.LBB88_9:                               ;   in Loop: Header=BB88_10 Depth=1
	s_or_b32 exec_lo, exec_lo, s3
	v_add_co_u32 v5, vcc_lo, v5, 16
	v_add_co_ci_u32_e64 v6, null, 0, v6, vcc_lo
	v_add_co_u32 v9, s3, v9, s10
	v_add_co_ci_u32_e64 v10, null, s11, v10, s3
	v_cmp_le_i64_e32 vcc_lo, s[18:19], v[5:6]
	s_or_b32 s17, vcc_lo, s17
	s_andn2_b32 exec_lo, exec_lo, s17
	s_cbranch_execz .LBB88_26
.LBB88_10:                              ; =>This Loop Header: Depth=1
                                        ;     Child Loop BB88_14 Depth 2
                                        ;       Child Loop BB88_17 Depth 3
	v_mov_b32_e32 v13, 0
	v_mov_b32_e32 v14, 0
	s_andn2_b32 vcc_lo, exec_lo, s22
	s_cbranch_vccnz .LBB88_21
; %bb.11:                               ;   in Loop: Header=BB88_10 Depth=1
	v_mov_b32_e32 v13, 0
	s_waitcnt lgkmcnt(0)
	v_mov_b32_e32 v16, v10
	v_mov_b32_e32 v14, 0
	;; [unrolled: 1-line block ×3, first 2 shown]
	s_mov_b64 s[20:21], s[4:5]
	s_branch .LBB88_14
.LBB88_12:                              ;   in Loop: Header=BB88_14 Depth=2
	s_or_b32 exec_lo, exec_lo, s30
.LBB88_13:                              ;   in Loop: Header=BB88_14 Depth=2
	s_or_b32 exec_lo, exec_lo, s28
	s_add_u32 s20, s20, 1
	s_addc_u32 s21, s21, 0
	v_add_co_u32 v15, vcc_lo, v15, s27
	v_cmp_ge_i64_e64 s3, s[20:21], s[6:7]
	v_add_co_ci_u32_e64 v16, null, s26, v16, vcc_lo
	s_and_b32 vcc_lo, exec_lo, s3
	s_cbranch_vccnz .LBB88_21
.LBB88_14:                              ;   Parent Loop BB88_10 Depth=1
                                        ; =>  This Loop Header: Depth=2
                                        ;       Child Loop BB88_17 Depth 3
	s_and_saveexec_b32 s28, s1
	s_cbranch_execz .LBB88_13
; %bb.15:                               ;   in Loop: Header=BB88_14 Depth=2
	s_lshl_b64 s[30:31], s[20:21], 3
	s_mul_i32 s29, s20, s19
	s_add_u32 s30, s12, s30
	s_addc_u32 s31, s13, s31
	v_mov_b32_e32 v20, v8
	s_load_dwordx2 s[30:31], s[30:31], 0x0
	v_mov_b32_e32 v19, v7
	s_mul_i32 s33, s21, s18
	s_waitcnt lgkmcnt(0)
	s_sub_u32 s3, s30, s16
	s_subb_u32 s31, s31, 0
	v_mad_u64_u32 v[17:18], null, s8, s3, v[11:12]
	s_mul_i32 s3, s9, s3
	s_mul_i32 s31, s8, s31
	s_mul_hi_u32 s30, s20, s18
	s_add_i32 s29, s30, s29
	s_mov_b32 s30, 0
	v_add3_u32 v18, s31, s3, v18
	s_add_i32 s29, s29, s33
	s_mul_i32 s31, s20, s18
	s_branch .LBB88_17
.LBB88_16:                              ;   in Loop: Header=BB88_17 Depth=3
	v_lshlrev_b64 v[21:22], 2, v[21:22]
	v_add_co_u32 v21, vcc_lo, s14, v21
	v_add_co_ci_u32_e64 v22, null, s15, v22, vcc_lo
	v_add_co_u32 v19, vcc_lo, v19, 16
	v_add_co_ci_u32_e64 v20, null, 0, v20, vcc_lo
	global_load_dword v26, v[21:22], off
	global_load_dwordx2 v[21:22], v[17:18], off
	v_add_co_u32 v17, s3, 0x80, v17
	v_cmp_le_i64_e32 vcc_lo, s[18:19], v[19:20]
	v_add_co_ci_u32_e64 v18, null, 0, v18, s3
	s_or_b32 s30, vcc_lo, s30
	s_waitcnt vmcnt(1)
	v_cvt_f64_f32_e32 v[26:27], v26
	s_waitcnt vmcnt(0)
	v_fma_f64 v[13:14], v[26:27], v[21:22], v[13:14]
	s_andn2_b32 exec_lo, exec_lo, s30
	s_cbranch_execz .LBB88_12
.LBB88_17:                              ;   Parent Loop BB88_10 Depth=1
                                        ;     Parent Loop BB88_14 Depth=2
                                        ; =>    This Inner Loop Header: Depth=3
	s_and_b32 vcc_lo, exec_lo, s24
	s_cbranch_vccz .LBB88_19
; %bb.18:                               ;   in Loop: Header=BB88_17 Depth=3
	v_add_co_u32 v21, vcc_lo, v19, s31
	v_add_co_ci_u32_e64 v22, null, s29, v20, vcc_lo
	v_mul_lo_u32 v26, v21, s19
	v_mul_lo_u32 v27, v22, s18
	v_mad_u64_u32 v[21:22], null, v21, s18, v[5:6]
	v_add3_u32 v22, v27, v22, v26
	s_cbranch_execnz .LBB88_16
	s_branch .LBB88_20
.LBB88_19:                              ;   in Loop: Header=BB88_17 Depth=3
                                        ; implicit-def: $vgpr21_vgpr22
.LBB88_20:                              ;   in Loop: Header=BB88_17 Depth=3
	v_add_co_u32 v21, vcc_lo, v15, v19
	v_add_co_ci_u32_e64 v22, null, v16, v20, vcc_lo
	s_branch .LBB88_16
.LBB88_21:                              ;   in Loop: Header=BB88_10 Depth=1
	s_waitcnt lgkmcnt(1)
	ds_bpermute_b32 v15, v0, v13
	s_waitcnt lgkmcnt(1)
	ds_bpermute_b32 v16, v0, v14
	s_waitcnt lgkmcnt(0)
	v_add_f64 v[13:14], v[13:14], v[15:16]
	ds_bpermute_b32 v15, v23, v13
	ds_bpermute_b32 v16, v23, v14
	s_waitcnt lgkmcnt(0)
	v_add_f64 v[13:14], v[13:14], v[15:16]
	ds_bpermute_b32 v15, v24, v13
	;; [unrolled: 4-line block ×3, first 2 shown]
	ds_bpermute_b32 v16, v25, v14
	s_and_saveexec_b32 s3, s2
	s_cbranch_execz .LBB88_9
; %bb.22:                               ;   in Loop: Header=BB88_10 Depth=1
	s_waitcnt lgkmcnt(0)
	v_add_f64 v[13:14], v[13:14], v[15:16]
	v_lshlrev_b64 v[15:16], 3, v[5:6]
	v_mul_f64 v[13:14], v[1:2], v[13:14]
	s_and_saveexec_b32 s20, s0
	s_xor_b32 s20, exec_lo, s20
	s_cbranch_execz .LBB88_24
; %bb.23:                               ;   in Loop: Header=BB88_10 Depth=1
	v_add_co_u32 v15, vcc_lo, s23, v15
	v_add_co_ci_u32_e64 v16, null, s25, v16, vcc_lo
	global_store_dwordx2 v[15:16], v[13:14], off
                                        ; implicit-def: $vgpr15_vgpr16
                                        ; implicit-def: $vgpr13_vgpr14
.LBB88_24:                              ;   in Loop: Header=BB88_10 Depth=1
	s_andn2_saveexec_b32 s20, s20
	s_cbranch_execz .LBB88_9
; %bb.25:                               ;   in Loop: Header=BB88_10 Depth=1
	v_add_co_u32 v15, vcc_lo, s23, v15
	v_add_co_ci_u32_e64 v16, null, s25, v16, vcc_lo
	global_load_dwordx2 v[17:18], v[15:16], off
	s_waitcnt vmcnt(0)
	v_fma_f64 v[13:14], v[3:4], v[17:18], v[13:14]
	global_store_dwordx2 v[15:16], v[13:14], off
	s_branch .LBB88_9
.LBB88_26:
	s_endpgm
	.section	.rodata,"a",@progbits
	.p2align	6, 0x0
	.amdhsa_kernel _ZN9rocsparseL22bsrxmvn_general_kernelILj256ELj16EdllfddEEv20rocsparse_direction_NS_24const_host_device_scalarIT1_EET3_PKS5_PKT2_SA_S7_PKT4_S5_PKT5_S4_PT6_21rocsparse_index_base_b
		.amdhsa_group_segment_fixed_size 0
		.amdhsa_private_segment_fixed_size 0
		.amdhsa_kernarg_size 104
		.amdhsa_user_sgpr_count 6
		.amdhsa_user_sgpr_private_segment_buffer 1
		.amdhsa_user_sgpr_dispatch_ptr 0
		.amdhsa_user_sgpr_queue_ptr 0
		.amdhsa_user_sgpr_kernarg_segment_ptr 1
		.amdhsa_user_sgpr_dispatch_id 0
		.amdhsa_user_sgpr_flat_scratch_init 0
		.amdhsa_user_sgpr_private_segment_size 0
		.amdhsa_wavefront_size32 1
		.amdhsa_uses_dynamic_stack 0
		.amdhsa_system_sgpr_private_segment_wavefront_offset 0
		.amdhsa_system_sgpr_workgroup_id_x 1
		.amdhsa_system_sgpr_workgroup_id_y 0
		.amdhsa_system_sgpr_workgroup_id_z 0
		.amdhsa_system_sgpr_workgroup_info 0
		.amdhsa_system_vgpr_workitem_id 0
		.amdhsa_next_free_vgpr 28
		.amdhsa_next_free_sgpr 34
		.amdhsa_reserve_vcc 1
		.amdhsa_reserve_flat_scratch 0
		.amdhsa_float_round_mode_32 0
		.amdhsa_float_round_mode_16_64 0
		.amdhsa_float_denorm_mode_32 3
		.amdhsa_float_denorm_mode_16_64 3
		.amdhsa_dx10_clamp 1
		.amdhsa_ieee_mode 1
		.amdhsa_fp16_overflow 0
		.amdhsa_workgroup_processor_mode 1
		.amdhsa_memory_ordered 1
		.amdhsa_forward_progress 1
		.amdhsa_shared_vgpr_count 0
		.amdhsa_exception_fp_ieee_invalid_op 0
		.amdhsa_exception_fp_denorm_src 0
		.amdhsa_exception_fp_ieee_div_zero 0
		.amdhsa_exception_fp_ieee_overflow 0
		.amdhsa_exception_fp_ieee_underflow 0
		.amdhsa_exception_fp_ieee_inexact 0
		.amdhsa_exception_int_div_zero 0
	.end_amdhsa_kernel
	.section	.text._ZN9rocsparseL22bsrxmvn_general_kernelILj256ELj16EdllfddEEv20rocsparse_direction_NS_24const_host_device_scalarIT1_EET3_PKS5_PKT2_SA_S7_PKT4_S5_PKT5_S4_PT6_21rocsparse_index_base_b,"axG",@progbits,_ZN9rocsparseL22bsrxmvn_general_kernelILj256ELj16EdllfddEEv20rocsparse_direction_NS_24const_host_device_scalarIT1_EET3_PKS5_PKT2_SA_S7_PKT4_S5_PKT5_S4_PT6_21rocsparse_index_base_b,comdat
.Lfunc_end88:
	.size	_ZN9rocsparseL22bsrxmvn_general_kernelILj256ELj16EdllfddEEv20rocsparse_direction_NS_24const_host_device_scalarIT1_EET3_PKS5_PKT2_SA_S7_PKT4_S5_PKT5_S4_PT6_21rocsparse_index_base_b, .Lfunc_end88-_ZN9rocsparseL22bsrxmvn_general_kernelILj256ELj16EdllfddEEv20rocsparse_direction_NS_24const_host_device_scalarIT1_EET3_PKS5_PKT2_SA_S7_PKT4_S5_PKT5_S4_PT6_21rocsparse_index_base_b
                                        ; -- End function
	.set _ZN9rocsparseL22bsrxmvn_general_kernelILj256ELj16EdllfddEEv20rocsparse_direction_NS_24const_host_device_scalarIT1_EET3_PKS5_PKT2_SA_S7_PKT4_S5_PKT5_S4_PT6_21rocsparse_index_base_b.num_vgpr, 28
	.set _ZN9rocsparseL22bsrxmvn_general_kernelILj256ELj16EdllfddEEv20rocsparse_direction_NS_24const_host_device_scalarIT1_EET3_PKS5_PKT2_SA_S7_PKT4_S5_PKT5_S4_PT6_21rocsparse_index_base_b.num_agpr, 0
	.set _ZN9rocsparseL22bsrxmvn_general_kernelILj256ELj16EdllfddEEv20rocsparse_direction_NS_24const_host_device_scalarIT1_EET3_PKS5_PKT2_SA_S7_PKT4_S5_PKT5_S4_PT6_21rocsparse_index_base_b.numbered_sgpr, 34
	.set _ZN9rocsparseL22bsrxmvn_general_kernelILj256ELj16EdllfddEEv20rocsparse_direction_NS_24const_host_device_scalarIT1_EET3_PKS5_PKT2_SA_S7_PKT4_S5_PKT5_S4_PT6_21rocsparse_index_base_b.num_named_barrier, 0
	.set _ZN9rocsparseL22bsrxmvn_general_kernelILj256ELj16EdllfddEEv20rocsparse_direction_NS_24const_host_device_scalarIT1_EET3_PKS5_PKT2_SA_S7_PKT4_S5_PKT5_S4_PT6_21rocsparse_index_base_b.private_seg_size, 0
	.set _ZN9rocsparseL22bsrxmvn_general_kernelILj256ELj16EdllfddEEv20rocsparse_direction_NS_24const_host_device_scalarIT1_EET3_PKS5_PKT2_SA_S7_PKT4_S5_PKT5_S4_PT6_21rocsparse_index_base_b.uses_vcc, 1
	.set _ZN9rocsparseL22bsrxmvn_general_kernelILj256ELj16EdllfddEEv20rocsparse_direction_NS_24const_host_device_scalarIT1_EET3_PKS5_PKT2_SA_S7_PKT4_S5_PKT5_S4_PT6_21rocsparse_index_base_b.uses_flat_scratch, 0
	.set _ZN9rocsparseL22bsrxmvn_general_kernelILj256ELj16EdllfddEEv20rocsparse_direction_NS_24const_host_device_scalarIT1_EET3_PKS5_PKT2_SA_S7_PKT4_S5_PKT5_S4_PT6_21rocsparse_index_base_b.has_dyn_sized_stack, 0
	.set _ZN9rocsparseL22bsrxmvn_general_kernelILj256ELj16EdllfddEEv20rocsparse_direction_NS_24const_host_device_scalarIT1_EET3_PKS5_PKT2_SA_S7_PKT4_S5_PKT5_S4_PT6_21rocsparse_index_base_b.has_recursion, 0
	.set _ZN9rocsparseL22bsrxmvn_general_kernelILj256ELj16EdllfddEEv20rocsparse_direction_NS_24const_host_device_scalarIT1_EET3_PKS5_PKT2_SA_S7_PKT4_S5_PKT5_S4_PT6_21rocsparse_index_base_b.has_indirect_call, 0
	.section	.AMDGPU.csdata,"",@progbits
; Kernel info:
; codeLenInByte = 1296
; TotalNumSgprs: 36
; NumVgprs: 28
; ScratchSize: 0
; MemoryBound: 0
; FloatMode: 240
; IeeeMode: 1
; LDSByteSize: 0 bytes/workgroup (compile time only)
; SGPRBlocks: 0
; VGPRBlocks: 3
; NumSGPRsForWavesPerEU: 36
; NumVGPRsForWavesPerEU: 28
; Occupancy: 16
; WaveLimiterHint : 1
; COMPUTE_PGM_RSRC2:SCRATCH_EN: 0
; COMPUTE_PGM_RSRC2:USER_SGPR: 6
; COMPUTE_PGM_RSRC2:TRAP_HANDLER: 0
; COMPUTE_PGM_RSRC2:TGID_X_EN: 1
; COMPUTE_PGM_RSRC2:TGID_Y_EN: 0
; COMPUTE_PGM_RSRC2:TGID_Z_EN: 0
; COMPUTE_PGM_RSRC2:TIDIG_COMP_CNT: 0
	.section	.text._ZN9rocsparseL22bsrxmvn_general_kernelILj1024ELj32EdllfddEEv20rocsparse_direction_NS_24const_host_device_scalarIT1_EET3_PKS5_PKT2_SA_S7_PKT4_S5_PKT5_S4_PT6_21rocsparse_index_base_b,"axG",@progbits,_ZN9rocsparseL22bsrxmvn_general_kernelILj1024ELj32EdllfddEEv20rocsparse_direction_NS_24const_host_device_scalarIT1_EET3_PKS5_PKT2_SA_S7_PKT4_S5_PKT5_S4_PT6_21rocsparse_index_base_b,comdat
	.globl	_ZN9rocsparseL22bsrxmvn_general_kernelILj1024ELj32EdllfddEEv20rocsparse_direction_NS_24const_host_device_scalarIT1_EET3_PKS5_PKT2_SA_S7_PKT4_S5_PKT5_S4_PT6_21rocsparse_index_base_b ; -- Begin function _ZN9rocsparseL22bsrxmvn_general_kernelILj1024ELj32EdllfddEEv20rocsparse_direction_NS_24const_host_device_scalarIT1_EET3_PKS5_PKT2_SA_S7_PKT4_S5_PKT5_S4_PT6_21rocsparse_index_base_b
	.p2align	8
	.type	_ZN9rocsparseL22bsrxmvn_general_kernelILj1024ELj32EdllfddEEv20rocsparse_direction_NS_24const_host_device_scalarIT1_EET3_PKS5_PKT2_SA_S7_PKT4_S5_PKT5_S4_PT6_21rocsparse_index_base_b,@function
_ZN9rocsparseL22bsrxmvn_general_kernelILj1024ELj32EdllfddEEv20rocsparse_direction_NS_24const_host_device_scalarIT1_EET3_PKS5_PKT2_SA_S7_PKT4_S5_PKT5_S4_PT6_21rocsparse_index_base_b: ; @_ZN9rocsparseL22bsrxmvn_general_kernelILj1024ELj32EdllfddEEv20rocsparse_direction_NS_24const_host_device_scalarIT1_EET3_PKS5_PKT2_SA_S7_PKT4_S5_PKT5_S4_PT6_21rocsparse_index_base_b
; %bb.0:
	s_clause 0x2
	s_load_dwordx2 s[16:17], s[4:5], 0x60
	s_load_dwordx2 s[2:3], s[4:5], 0x8
	s_load_dwordx2 s[0:1], s[4:5], 0x50
	s_waitcnt lgkmcnt(0)
	s_bitcmp1_b32 s17, 0
	v_mov_b32_e32 v1, s2
	v_mov_b32_e32 v2, s3
	s_cselect_b32 s7, -1, 0
	s_and_b32 vcc_lo, exec_lo, s7
	s_xor_b32 s7, s7, -1
	s_cbranch_vccnz .LBB89_2
; %bb.1:
	v_mov_b32_e32 v1, s2
	v_mov_b32_e32 v2, s3
	flat_load_dwordx2 v[1:2], v[1:2]
.LBB89_2:
	v_mov_b32_e32 v4, s1
	v_mov_b32_e32 v3, s0
	s_andn2_b32 vcc_lo, exec_lo, s7
	s_cbranch_vccnz .LBB89_4
; %bb.3:
	v_mov_b32_e32 v4, s1
	v_mov_b32_e32 v3, s0
	flat_load_dwordx2 v[3:4], v[3:4]
.LBB89_4:
	s_waitcnt vmcnt(0) lgkmcnt(0)
	v_cmp_neq_f64_e32 vcc_lo, 0, v[1:2]
	v_cmp_neq_f64_e64 s0, 1.0, v[3:4]
	s_or_b32 s0, vcc_lo, s0
	s_and_saveexec_b32 s1, s0
	s_cbranch_execz .LBB89_26
; %bb.5:
	s_load_dwordx2 s[0:1], s[4:5], 0x18
	s_mov_b32 s7, 0
	s_waitcnt lgkmcnt(0)
	s_cmp_eq_u64 s[0:1], 0
	s_cbranch_scc1 .LBB89_7
; %bb.6:
	s_lshl_b64 s[2:3], s[6:7], 3
	s_add_u32 s0, s0, s2
	s_addc_u32 s1, s1, s3
	s_load_dwordx2 s[0:1], s[0:1], 0x0
	s_waitcnt lgkmcnt(0)
	s_sub_u32 s6, s0, s16
	s_subb_u32 s7, s1, 0
.LBB89_7:
	s_load_dwordx2 s[18:19], s[4:5], 0x40
	v_lshrrev_b32_e32 v5, 5, v0
	v_mov_b32_e32 v6, 0
	s_waitcnt lgkmcnt(0)
	v_cmp_gt_i64_e32 vcc_lo, s[18:19], v[5:6]
	s_and_b32 exec_lo, exec_lo, vcc_lo
	s_cbranch_execz .LBB89_26
; %bb.8:
	s_load_dwordx8 s[8:15], s[4:5], 0x20
	s_lshl_b64 s[24:25], s[6:7], 3
	s_clause 0x1
	s_load_dwordx2 s[20:21], s[4:5], 0x58
	s_load_dwordx2 s[22:23], s[4:5], 0x48
	v_and_b32_e32 v7, 31, v0
	v_mbcnt_lo_u32_b32 v0, -1, 0
	s_load_dword s3, s[4:5], 0x0
	s_mul_i32 s29, s6, s19
	s_mul_hi_u32 s30, s6, s18
	s_mul_i32 s28, s6, s18
	v_xor_b32_e32 v9, 16, v0
	v_xor_b32_e32 v10, 8, v0
	s_mul_i32 s31, s7, s18
	v_xor_b32_e32 v11, 4, v0
	v_xor_b32_e32 v12, 2, v0
	v_cmp_gt_i32_e32 vcc_lo, 32, v9
	v_xor_b32_e32 v13, 1, v0
	v_cmp_eq_f64_e64 s0, 0, v[3:4]
	v_lshlrev_b32_e32 v14, 3, v7
	v_mov_b32_e32 v8, v6
	v_cndmask_b32_e32 v15, v0, v9, vcc_lo
	s_waitcnt lgkmcnt(0)
	s_add_u32 s26, s8, s24
	s_addc_u32 s27, s9, s25
	v_cmp_gt_i32_e32 vcc_lo, 32, v10
	s_load_dwordx2 s[8:9], s[26:27], 0x0
	s_mul_i32 s33, s18, s19
	s_mul_hi_u32 s34, s18, s18
	v_cmp_gt_u64_e64 s1, s[18:19], v[7:8]
	v_cndmask_b32_e32 v16, v0, v10, vcc_lo
	v_cmp_gt_i32_e32 vcc_lo, 32, v11
	v_cmp_eq_u32_e64 s2, 31, v7
	s_mov_b32 s17, 0
	v_lshlrev_b32_e32 v23, 2, v16
	v_cndmask_b32_e32 v11, v0, v11, vcc_lo
	v_cmp_gt_i32_e32 vcc_lo, 32, v12
	v_lshlrev_b32_e32 v24, 2, v11
	v_cndmask_b32_e32 v12, v0, v12, vcc_lo
	v_cmp_gt_i32_e32 vcc_lo, 32, v13
	s_waitcnt lgkmcnt(0)
	s_sub_u32 s4, s8, s16
	s_subb_u32 s5, s9, 0
	s_add_u32 s6, s26, 8
	s_addc_u32 s7, s27, 0
	s_add_u32 s24, s10, s24
	s_addc_u32 s25, s11, s25
	s_cmp_eq_u64 s[10:11], 0
	v_mad_u64_u32 v[9:10], null, s18, s4, v[5:6]
	s_cselect_b32 s7, s7, s25
	s_cselect_b32 s6, s6, s24
	v_cndmask_b32_e32 v13, v0, v13, vcc_lo
	s_load_dwordx2 s[10:11], s[6:7], 0x0
	s_mul_i32 s6, s19, s4
	s_mul_i32 s7, s18, s5
	v_lshlrev_b32_e32 v0, 2, v15
	v_add3_u32 v11, s7, s6, v10
	v_lshlrev_b32_e32 v26, 2, v13
	v_mul_lo_u32 v13, s19, v9
	v_mad_u64_u32 v[9:10], null, s18, v9, 0
	v_mul_lo_u32 v15, s18, v11
	v_add_co_u32 v11, s22, s22, v14
	v_lshlrev_b32_e32 v25, 2, v12
	v_add_co_ci_u32_e64 v12, null, s23, 0, s22
	v_add3_u32 v10, v10, v15, v13
	s_waitcnt lgkmcnt(0)
	s_sub_u32 s6, s10, s16
	s_subb_u32 s7, s11, 0
	s_cmp_lg_u32 s3, 0
	v_cmp_lt_i64_e64 s22, s[8:9], s[10:11]
	s_cselect_b32 s24, -1, 0
	s_add_i32 s3, s30, s29
	s_add_i32 s29, s3, s31
	s_lshl_b64 s[26:27], s[28:29], 3
	s_add_u32 s23, s20, s26
	s_addc_u32 s25, s21, s27
	s_add_i32 s3, s34, s33
	s_lshl_b64 s[8:9], s[18:19], 3
	s_lshl_b64 s[10:11], s[18:19], 5
	s_add_i32 s26, s3, s33
	s_mul_i32 s27, s18, s18
	s_branch .LBB89_10
.LBB89_9:                               ;   in Loop: Header=BB89_10 Depth=1
	s_or_b32 exec_lo, exec_lo, s3
	v_add_co_u32 v5, vcc_lo, v5, 32
	v_add_co_ci_u32_e64 v6, null, 0, v6, vcc_lo
	v_add_co_u32 v9, s3, v9, s10
	v_add_co_ci_u32_e64 v10, null, s11, v10, s3
	v_cmp_le_i64_e32 vcc_lo, s[18:19], v[5:6]
	s_or_b32 s17, vcc_lo, s17
	s_andn2_b32 exec_lo, exec_lo, s17
	s_cbranch_execz .LBB89_26
.LBB89_10:                              ; =>This Loop Header: Depth=1
                                        ;     Child Loop BB89_14 Depth 2
                                        ;       Child Loop BB89_17 Depth 3
	v_mov_b32_e32 v13, 0
	v_mov_b32_e32 v14, 0
	s_andn2_b32 vcc_lo, exec_lo, s22
	s_cbranch_vccnz .LBB89_21
; %bb.11:                               ;   in Loop: Header=BB89_10 Depth=1
	v_mov_b32_e32 v13, 0
	s_waitcnt lgkmcnt(0)
	v_mov_b32_e32 v16, v10
	v_mov_b32_e32 v14, 0
	;; [unrolled: 1-line block ×3, first 2 shown]
	s_mov_b64 s[20:21], s[4:5]
	s_branch .LBB89_14
.LBB89_12:                              ;   in Loop: Header=BB89_14 Depth=2
	s_or_b32 exec_lo, exec_lo, s30
.LBB89_13:                              ;   in Loop: Header=BB89_14 Depth=2
	s_or_b32 exec_lo, exec_lo, s28
	s_add_u32 s20, s20, 1
	s_addc_u32 s21, s21, 0
	v_add_co_u32 v15, vcc_lo, v15, s27
	v_cmp_ge_i64_e64 s3, s[20:21], s[6:7]
	v_add_co_ci_u32_e64 v16, null, s26, v16, vcc_lo
	s_and_b32 vcc_lo, exec_lo, s3
	s_cbranch_vccnz .LBB89_21
.LBB89_14:                              ;   Parent Loop BB89_10 Depth=1
                                        ; =>  This Loop Header: Depth=2
                                        ;       Child Loop BB89_17 Depth 3
	s_and_saveexec_b32 s28, s1
	s_cbranch_execz .LBB89_13
; %bb.15:                               ;   in Loop: Header=BB89_14 Depth=2
	s_lshl_b64 s[30:31], s[20:21], 3
	s_mul_i32 s29, s20, s19
	s_add_u32 s30, s12, s30
	s_addc_u32 s31, s13, s31
	v_mov_b32_e32 v20, v8
	s_load_dwordx2 s[30:31], s[30:31], 0x0
	v_mov_b32_e32 v19, v7
	s_mul_i32 s33, s21, s18
	s_waitcnt lgkmcnt(0)
	s_sub_u32 s3, s30, s16
	s_subb_u32 s31, s31, 0
	v_mad_u64_u32 v[17:18], null, s8, s3, v[11:12]
	s_mul_i32 s3, s9, s3
	s_mul_i32 s31, s8, s31
	s_mul_hi_u32 s30, s20, s18
	s_add_i32 s29, s30, s29
	s_mov_b32 s30, 0
	v_add3_u32 v18, s31, s3, v18
	s_add_i32 s29, s29, s33
	s_mul_i32 s31, s20, s18
	s_branch .LBB89_17
.LBB89_16:                              ;   in Loop: Header=BB89_17 Depth=3
	v_lshlrev_b64 v[21:22], 2, v[21:22]
	v_add_co_u32 v21, vcc_lo, s14, v21
	v_add_co_ci_u32_e64 v22, null, s15, v22, vcc_lo
	v_add_co_u32 v19, vcc_lo, v19, 32
	v_add_co_ci_u32_e64 v20, null, 0, v20, vcc_lo
	global_load_dword v27, v[21:22], off
	global_load_dwordx2 v[21:22], v[17:18], off
	v_add_co_u32 v17, s3, 0x100, v17
	v_cmp_le_i64_e32 vcc_lo, s[18:19], v[19:20]
	v_add_co_ci_u32_e64 v18, null, 0, v18, s3
	s_or_b32 s30, vcc_lo, s30
	s_waitcnt vmcnt(1)
	v_cvt_f64_f32_e32 v[27:28], v27
	s_waitcnt vmcnt(0)
	v_fma_f64 v[13:14], v[27:28], v[21:22], v[13:14]
	s_andn2_b32 exec_lo, exec_lo, s30
	s_cbranch_execz .LBB89_12
.LBB89_17:                              ;   Parent Loop BB89_10 Depth=1
                                        ;     Parent Loop BB89_14 Depth=2
                                        ; =>    This Inner Loop Header: Depth=3
	s_and_b32 vcc_lo, exec_lo, s24
	s_cbranch_vccz .LBB89_19
; %bb.18:                               ;   in Loop: Header=BB89_17 Depth=3
	v_add_co_u32 v21, vcc_lo, v19, s31
	v_add_co_ci_u32_e64 v22, null, s29, v20, vcc_lo
	v_mul_lo_u32 v27, v21, s19
	v_mul_lo_u32 v28, v22, s18
	v_mad_u64_u32 v[21:22], null, v21, s18, v[5:6]
	v_add3_u32 v22, v28, v22, v27
	s_cbranch_execnz .LBB89_16
	s_branch .LBB89_20
.LBB89_19:                              ;   in Loop: Header=BB89_17 Depth=3
                                        ; implicit-def: $vgpr21_vgpr22
.LBB89_20:                              ;   in Loop: Header=BB89_17 Depth=3
	v_add_co_u32 v21, vcc_lo, v15, v19
	v_add_co_ci_u32_e64 v22, null, v16, v20, vcc_lo
	s_branch .LBB89_16
.LBB89_21:                              ;   in Loop: Header=BB89_10 Depth=1
	s_waitcnt lgkmcnt(1)
	ds_bpermute_b32 v15, v0, v13
	s_waitcnt lgkmcnt(1)
	ds_bpermute_b32 v16, v0, v14
	s_waitcnt lgkmcnt(0)
	v_add_f64 v[13:14], v[13:14], v[15:16]
	ds_bpermute_b32 v15, v23, v13
	ds_bpermute_b32 v16, v23, v14
	s_waitcnt lgkmcnt(0)
	v_add_f64 v[13:14], v[13:14], v[15:16]
	ds_bpermute_b32 v15, v24, v13
	;; [unrolled: 4-line block ×4, first 2 shown]
	ds_bpermute_b32 v16, v26, v14
	s_and_saveexec_b32 s3, s2
	s_cbranch_execz .LBB89_9
; %bb.22:                               ;   in Loop: Header=BB89_10 Depth=1
	s_waitcnt lgkmcnt(0)
	v_add_f64 v[13:14], v[13:14], v[15:16]
	v_lshlrev_b64 v[15:16], 3, v[5:6]
	v_mul_f64 v[13:14], v[1:2], v[13:14]
	s_and_saveexec_b32 s20, s0
	s_xor_b32 s20, exec_lo, s20
	s_cbranch_execz .LBB89_24
; %bb.23:                               ;   in Loop: Header=BB89_10 Depth=1
	v_add_co_u32 v15, vcc_lo, s23, v15
	v_add_co_ci_u32_e64 v16, null, s25, v16, vcc_lo
	global_store_dwordx2 v[15:16], v[13:14], off
                                        ; implicit-def: $vgpr15_vgpr16
                                        ; implicit-def: $vgpr13_vgpr14
.LBB89_24:                              ;   in Loop: Header=BB89_10 Depth=1
	s_andn2_saveexec_b32 s20, s20
	s_cbranch_execz .LBB89_9
; %bb.25:                               ;   in Loop: Header=BB89_10 Depth=1
	v_add_co_u32 v15, vcc_lo, s23, v15
	v_add_co_ci_u32_e64 v16, null, s25, v16, vcc_lo
	global_load_dwordx2 v[17:18], v[15:16], off
	s_waitcnt vmcnt(0)
	v_fma_f64 v[13:14], v[3:4], v[17:18], v[13:14]
	global_store_dwordx2 v[15:16], v[13:14], off
	s_branch .LBB89_9
.LBB89_26:
	s_endpgm
	.section	.rodata,"a",@progbits
	.p2align	6, 0x0
	.amdhsa_kernel _ZN9rocsparseL22bsrxmvn_general_kernelILj1024ELj32EdllfddEEv20rocsparse_direction_NS_24const_host_device_scalarIT1_EET3_PKS5_PKT2_SA_S7_PKT4_S5_PKT5_S4_PT6_21rocsparse_index_base_b
		.amdhsa_group_segment_fixed_size 0
		.amdhsa_private_segment_fixed_size 0
		.amdhsa_kernarg_size 104
		.amdhsa_user_sgpr_count 6
		.amdhsa_user_sgpr_private_segment_buffer 1
		.amdhsa_user_sgpr_dispatch_ptr 0
		.amdhsa_user_sgpr_queue_ptr 0
		.amdhsa_user_sgpr_kernarg_segment_ptr 1
		.amdhsa_user_sgpr_dispatch_id 0
		.amdhsa_user_sgpr_flat_scratch_init 0
		.amdhsa_user_sgpr_private_segment_size 0
		.amdhsa_wavefront_size32 1
		.amdhsa_uses_dynamic_stack 0
		.amdhsa_system_sgpr_private_segment_wavefront_offset 0
		.amdhsa_system_sgpr_workgroup_id_x 1
		.amdhsa_system_sgpr_workgroup_id_y 0
		.amdhsa_system_sgpr_workgroup_id_z 0
		.amdhsa_system_sgpr_workgroup_info 0
		.amdhsa_system_vgpr_workitem_id 0
		.amdhsa_next_free_vgpr 29
		.amdhsa_next_free_sgpr 35
		.amdhsa_reserve_vcc 1
		.amdhsa_reserve_flat_scratch 0
		.amdhsa_float_round_mode_32 0
		.amdhsa_float_round_mode_16_64 0
		.amdhsa_float_denorm_mode_32 3
		.amdhsa_float_denorm_mode_16_64 3
		.amdhsa_dx10_clamp 1
		.amdhsa_ieee_mode 1
		.amdhsa_fp16_overflow 0
		.amdhsa_workgroup_processor_mode 1
		.amdhsa_memory_ordered 1
		.amdhsa_forward_progress 1
		.amdhsa_shared_vgpr_count 0
		.amdhsa_exception_fp_ieee_invalid_op 0
		.amdhsa_exception_fp_denorm_src 0
		.amdhsa_exception_fp_ieee_div_zero 0
		.amdhsa_exception_fp_ieee_overflow 0
		.amdhsa_exception_fp_ieee_underflow 0
		.amdhsa_exception_fp_ieee_inexact 0
		.amdhsa_exception_int_div_zero 0
	.end_amdhsa_kernel
	.section	.text._ZN9rocsparseL22bsrxmvn_general_kernelILj1024ELj32EdllfddEEv20rocsparse_direction_NS_24const_host_device_scalarIT1_EET3_PKS5_PKT2_SA_S7_PKT4_S5_PKT5_S4_PT6_21rocsparse_index_base_b,"axG",@progbits,_ZN9rocsparseL22bsrxmvn_general_kernelILj1024ELj32EdllfddEEv20rocsparse_direction_NS_24const_host_device_scalarIT1_EET3_PKS5_PKT2_SA_S7_PKT4_S5_PKT5_S4_PT6_21rocsparse_index_base_b,comdat
.Lfunc_end89:
	.size	_ZN9rocsparseL22bsrxmvn_general_kernelILj1024ELj32EdllfddEEv20rocsparse_direction_NS_24const_host_device_scalarIT1_EET3_PKS5_PKT2_SA_S7_PKT4_S5_PKT5_S4_PT6_21rocsparse_index_base_b, .Lfunc_end89-_ZN9rocsparseL22bsrxmvn_general_kernelILj1024ELj32EdllfddEEv20rocsparse_direction_NS_24const_host_device_scalarIT1_EET3_PKS5_PKT2_SA_S7_PKT4_S5_PKT5_S4_PT6_21rocsparse_index_base_b
                                        ; -- End function
	.set _ZN9rocsparseL22bsrxmvn_general_kernelILj1024ELj32EdllfddEEv20rocsparse_direction_NS_24const_host_device_scalarIT1_EET3_PKS5_PKT2_SA_S7_PKT4_S5_PKT5_S4_PT6_21rocsparse_index_base_b.num_vgpr, 29
	.set _ZN9rocsparseL22bsrxmvn_general_kernelILj1024ELj32EdllfddEEv20rocsparse_direction_NS_24const_host_device_scalarIT1_EET3_PKS5_PKT2_SA_S7_PKT4_S5_PKT5_S4_PT6_21rocsparse_index_base_b.num_agpr, 0
	.set _ZN9rocsparseL22bsrxmvn_general_kernelILj1024ELj32EdllfddEEv20rocsparse_direction_NS_24const_host_device_scalarIT1_EET3_PKS5_PKT2_SA_S7_PKT4_S5_PKT5_S4_PT6_21rocsparse_index_base_b.numbered_sgpr, 35
	.set _ZN9rocsparseL22bsrxmvn_general_kernelILj1024ELj32EdllfddEEv20rocsparse_direction_NS_24const_host_device_scalarIT1_EET3_PKS5_PKT2_SA_S7_PKT4_S5_PKT5_S4_PT6_21rocsparse_index_base_b.num_named_barrier, 0
	.set _ZN9rocsparseL22bsrxmvn_general_kernelILj1024ELj32EdllfddEEv20rocsparse_direction_NS_24const_host_device_scalarIT1_EET3_PKS5_PKT2_SA_S7_PKT4_S5_PKT5_S4_PT6_21rocsparse_index_base_b.private_seg_size, 0
	.set _ZN9rocsparseL22bsrxmvn_general_kernelILj1024ELj32EdllfddEEv20rocsparse_direction_NS_24const_host_device_scalarIT1_EET3_PKS5_PKT2_SA_S7_PKT4_S5_PKT5_S4_PT6_21rocsparse_index_base_b.uses_vcc, 1
	.set _ZN9rocsparseL22bsrxmvn_general_kernelILj1024ELj32EdllfddEEv20rocsparse_direction_NS_24const_host_device_scalarIT1_EET3_PKS5_PKT2_SA_S7_PKT4_S5_PKT5_S4_PT6_21rocsparse_index_base_b.uses_flat_scratch, 0
	.set _ZN9rocsparseL22bsrxmvn_general_kernelILj1024ELj32EdllfddEEv20rocsparse_direction_NS_24const_host_device_scalarIT1_EET3_PKS5_PKT2_SA_S7_PKT4_S5_PKT5_S4_PT6_21rocsparse_index_base_b.has_dyn_sized_stack, 0
	.set _ZN9rocsparseL22bsrxmvn_general_kernelILj1024ELj32EdllfddEEv20rocsparse_direction_NS_24const_host_device_scalarIT1_EET3_PKS5_PKT2_SA_S7_PKT4_S5_PKT5_S4_PT6_21rocsparse_index_base_b.has_recursion, 0
	.set _ZN9rocsparseL22bsrxmvn_general_kernelILj1024ELj32EdllfddEEv20rocsparse_direction_NS_24const_host_device_scalarIT1_EET3_PKS5_PKT2_SA_S7_PKT4_S5_PKT5_S4_PT6_21rocsparse_index_base_b.has_indirect_call, 0
	.section	.AMDGPU.csdata,"",@progbits
; Kernel info:
; codeLenInByte = 1340
; TotalNumSgprs: 37
; NumVgprs: 29
; ScratchSize: 0
; MemoryBound: 0
; FloatMode: 240
; IeeeMode: 1
; LDSByteSize: 0 bytes/workgroup (compile time only)
; SGPRBlocks: 0
; VGPRBlocks: 3
; NumSGPRsForWavesPerEU: 37
; NumVGPRsForWavesPerEU: 29
; Occupancy: 16
; WaveLimiterHint : 1
; COMPUTE_PGM_RSRC2:SCRATCH_EN: 0
; COMPUTE_PGM_RSRC2:USER_SGPR: 6
; COMPUTE_PGM_RSRC2:TRAP_HANDLER: 0
; COMPUTE_PGM_RSRC2:TGID_X_EN: 1
; COMPUTE_PGM_RSRC2:TGID_Y_EN: 0
; COMPUTE_PGM_RSRC2:TGID_Z_EN: 0
; COMPUTE_PGM_RSRC2:TIDIG_COMP_CNT: 0
	.section	.text._ZN9rocsparseL22bsrxmvn_general_kernelILj64ELj8E21rocsparse_complex_numIdEiidS2_S2_EEv20rocsparse_direction_NS_24const_host_device_scalarIT1_EET3_PKS7_PKT2_SC_S9_PKT4_S7_PKT5_S6_PT6_21rocsparse_index_base_b,"axG",@progbits,_ZN9rocsparseL22bsrxmvn_general_kernelILj64ELj8E21rocsparse_complex_numIdEiidS2_S2_EEv20rocsparse_direction_NS_24const_host_device_scalarIT1_EET3_PKS7_PKT2_SC_S9_PKT4_S7_PKT5_S6_PT6_21rocsparse_index_base_b,comdat
	.globl	_ZN9rocsparseL22bsrxmvn_general_kernelILj64ELj8E21rocsparse_complex_numIdEiidS2_S2_EEv20rocsparse_direction_NS_24const_host_device_scalarIT1_EET3_PKS7_PKT2_SC_S9_PKT4_S7_PKT5_S6_PT6_21rocsparse_index_base_b ; -- Begin function _ZN9rocsparseL22bsrxmvn_general_kernelILj64ELj8E21rocsparse_complex_numIdEiidS2_S2_EEv20rocsparse_direction_NS_24const_host_device_scalarIT1_EET3_PKS7_PKT2_SC_S9_PKT4_S7_PKT5_S6_PT6_21rocsparse_index_base_b
	.p2align	8
	.type	_ZN9rocsparseL22bsrxmvn_general_kernelILj64ELj8E21rocsparse_complex_numIdEiidS2_S2_EEv20rocsparse_direction_NS_24const_host_device_scalarIT1_EET3_PKS7_PKT2_SC_S9_PKT4_S7_PKT5_S6_PT6_21rocsparse_index_base_b,@function
_ZN9rocsparseL22bsrxmvn_general_kernelILj64ELj8E21rocsparse_complex_numIdEiidS2_S2_EEv20rocsparse_direction_NS_24const_host_device_scalarIT1_EET3_PKS7_PKT2_SC_S9_PKT4_S7_PKT5_S6_PT6_21rocsparse_index_base_b: ; @_ZN9rocsparseL22bsrxmvn_general_kernelILj64ELj8E21rocsparse_complex_numIdEiidS2_S2_EEv20rocsparse_direction_NS_24const_host_device_scalarIT1_EET3_PKS7_PKT2_SC_S9_PKT4_S7_PKT5_S6_PT6_21rocsparse_index_base_b
; %bb.0:
	s_clause 0x1
	s_load_dwordx2 s[16:17], s[4:5], 0x70
	s_load_dwordx2 s[0:1], s[4:5], 0x8
	s_add_u32 s7, s4, 8
	s_addc_u32 s8, s5, 0
	s_add_u32 s9, s4, 0x58
	s_addc_u32 s10, s5, 0
	s_load_dwordx2 s[2:3], s[4:5], 0x58
	s_waitcnt lgkmcnt(0)
	s_bitcmp1_b32 s17, 0
	s_cselect_b32 s0, s7, s0
	s_cselect_b32 s1, s8, s1
	v_mov_b32_e32 v1, s0
	v_mov_b32_e32 v2, s1
	s_cselect_b32 s0, s9, s2
	s_cselect_b32 s1, s10, s3
	v_mov_b32_e32 v5, s0
	v_mov_b32_e32 v6, s1
	flat_load_dwordx4 v[1:4], v[1:2]
	flat_load_dwordx4 v[5:8], v[5:6]
	s_waitcnt vmcnt(1) lgkmcnt(1)
	v_cmp_eq_f64_e32 vcc_lo, 0, v[1:2]
	v_cmp_eq_f64_e64 s0, 0, v[3:4]
	s_and_b32 s2, vcc_lo, s0
	s_mov_b32 s0, -1
	s_and_saveexec_b32 s1, s2
	s_cbranch_execz .LBB90_2
; %bb.1:
	s_waitcnt vmcnt(0) lgkmcnt(0)
	v_cmp_neq_f64_e32 vcc_lo, 1.0, v[5:6]
	v_cmp_neq_f64_e64 s0, 0, v[7:8]
	s_or_b32 s0, vcc_lo, s0
	s_orn2_b32 s0, s0, exec_lo
.LBB90_2:
	s_or_b32 exec_lo, exec_lo, s1
	s_and_saveexec_b32 s1, s0
	s_cbranch_execz .LBB90_24
; %bb.3:
	s_load_dwordx2 s[0:1], s[4:5], 0x20
	s_waitcnt lgkmcnt(0)
	s_cmp_eq_u64 s[0:1], 0
	s_cbranch_scc1 .LBB90_5
; %bb.4:
	s_ashr_i32 s7, s6, 31
	s_lshl_b64 s[2:3], s[6:7], 2
	s_add_u32 s0, s0, s2
	s_addc_u32 s1, s1, s3
	s_load_dword s0, s[0:1], 0x0
	s_waitcnt lgkmcnt(0)
	s_sub_i32 s6, s0, s16
.LBB90_5:
	s_load_dword s17, s[4:5], 0x48
	v_lshrrev_b32_e32 v13, 3, v0
	s_waitcnt lgkmcnt(0)
	v_cmp_gt_i32_e32 vcc_lo, s17, v13
	s_and_b32 exec_lo, exec_lo, vcc_lo
	s_cbranch_execz .LBB90_24
; %bb.6:
	s_load_dwordx8 s[8:15], s[4:5], 0x28
	s_ashr_i32 s7, s6, 31
	v_mbcnt_lo_u32_b32 v9, -1, 0
	s_lshl_b64 s[0:1], s[6:7], 2
	s_load_dword s24, s[4:5], 0x0
	s_waitcnt vmcnt(0)
	v_cmp_eq_f64_e32 vcc_lo, 0, v[5:6]
	v_cmp_eq_f64_e64 s2, 0, v[7:8]
	v_xor_b32_e32 v10, 4, v9
	v_xor_b32_e32 v11, 2, v9
	;; [unrolled: 1-line block ×3, first 2 shown]
	v_and_b32_e32 v15, 7, v0
	v_mov_b32_e32 v14, 0
	s_mul_i32 s7, s17, s17
	v_mul_lo_u32 v0, s17, v13
	s_mul_i32 s6, s6, s17
	v_mul_lo_u32 v23, s17, v15
	v_mov_b32_e32 v16, v14
	s_waitcnt lgkmcnt(0)
	s_add_u32 s22, s8, s0
	s_addc_u32 s23, s9, s1
	s_load_dword s21, s[22:23], 0x0
	s_clause 0x1
	s_load_dwordx2 s[8:9], s[4:5], 0x68
	s_load_dwordx2 s[18:19], s[4:5], 0x50
	s_mul_hi_u32 s5, s17, s17
	s_mov_b32 s4, 0
	s_waitcnt lgkmcnt(0)
	s_sub_i32 s20, s21, s16
	s_add_u32 s3, s22, 4
	s_addc_u32 s22, s23, 0
	s_add_u32 s0, s10, s0
	s_addc_u32 s1, s11, s1
	s_cmp_eq_u64 s[10:11], 0
	s_mul_hi_u32 s23, s20, s7
	s_cselect_b32 s1, s22, s1
	s_cselect_b32 s0, s3, s0
	v_cmp_gt_i32_e64 s3, 32, v10
	s_load_dword s11, s[0:1], 0x0
	v_cmp_gt_u32_e64 s0, s17, v15
	v_cmp_eq_u32_e64 s1, 7, v15
	v_cndmask_b32_e64 v10, v9, v10, s3
	v_cmp_gt_i32_e64 s3, 32, v11
	v_lshlrev_b32_e32 v24, 2, v10
	v_cndmask_b32_e64 v11, v9, v11, s3
	v_cmp_gt_i32_e64 s3, 32, v12
	v_lshlrev_b32_e32 v25, 2, v11
	v_cndmask_b32_e64 v9, v9, v12, s3
	s_mul_i32 s3, s20, s5
	s_waitcnt lgkmcnt(0)
	s_sub_i32 s10, s11, s16
	s_cmp_lt_i32 s21, s11
	v_lshlrev_b32_e32 v26, 2, v9
	s_cselect_b32 s21, -1, 0
	s_cmp_lg_u32 s24, 0
	s_mul_i32 s11, s20, s7
	s_cselect_b32 s22, -1, 0
	s_ashr_i32 s24, s20, 31
	s_add_i32 s3, s23, s3
	s_mul_i32 s24, s24, s7
	s_and_b32 s23, vcc_lo, s2
	s_add_i32 s24, s3, s24
	s_lshl_b32 s25, s17, 3
	s_branch .LBB90_8
.LBB90_7:                               ;   in Loop: Header=BB90_8 Depth=1
	s_or_b32 exec_lo, exec_lo, s2
	v_add_nc_u32_e32 v13, 8, v13
	v_add_nc_u32_e32 v0, s25, v0
	v_cmp_le_i32_e32 vcc_lo, s17, v13
	s_or_b32 s4, vcc_lo, s4
	s_andn2_b32 exec_lo, exec_lo, s4
	s_cbranch_execz .LBB90_24
.LBB90_8:                               ; =>This Loop Header: Depth=1
                                        ;     Child Loop BB90_12 Depth 2
                                        ;       Child Loop BB90_15 Depth 3
	v_mov_b32_e32 v9, 0
	v_mov_b32_e32 v11, 0
	;; [unrolled: 1-line block ×4, first 2 shown]
	s_andn2_b32 vcc_lo, exec_lo, s21
	s_cbranch_vccnz .LBB90_19
; %bb.9:                                ;   in Loop: Header=BB90_8 Depth=1
	s_waitcnt lgkmcnt(3)
	v_ashrrev_i32_e32 v17, 31, v0
	v_add_co_u32 v27, vcc_lo, s11, v0
	v_mov_b32_e32 v9, 0
	v_mov_b32_e32 v11, 0
	;; [unrolled: 1-line block ×4, first 2 shown]
	v_add_co_ci_u32_e64 v28, null, s24, v17, vcc_lo
	s_mov_b32 s2, s20
	s_branch .LBB90_12
.LBB90_10:                              ;   in Loop: Header=BB90_12 Depth=2
	s_or_b32 exec_lo, exec_lo, s3
.LBB90_11:                              ;   in Loop: Header=BB90_12 Depth=2
	s_or_b32 exec_lo, exec_lo, s26
	v_add_co_u32 v27, vcc_lo, v27, s7
	v_add_co_ci_u32_e64 v28, null, s5, v28, vcc_lo
	s_add_i32 s2, s2, 1
	s_cmp_ge_i32 s2, s10
	s_cbranch_scc1 .LBB90_19
.LBB90_12:                              ;   Parent Loop BB90_8 Depth=1
                                        ; =>  This Loop Header: Depth=2
                                        ;       Child Loop BB90_15 Depth 3
	s_and_saveexec_b32 s26, s0
	s_cbranch_execz .LBB90_11
; %bb.13:                               ;   in Loop: Header=BB90_12 Depth=2
	s_ashr_i32 s3, s2, 31
	s_waitcnt lgkmcnt(2)
	v_mad_u64_u32 v[17:18], null, s7, s2, v[13:14]
	s_lshl_b64 s[28:29], s[2:3], 2
	s_mul_i32 s3, s7, s3
	s_add_u32 s28, s12, s28
	s_addc_u32 s29, s13, s29
	s_waitcnt lgkmcnt(0)
	v_mov_b32_e32 v20, v16
	s_load_dword s27, s[28:29], 0x0
	s_mul_i32 s28, s5, s2
	v_mov_b32_e32 v29, v23
	v_mov_b32_e32 v19, v15
	v_add3_u32 v18, s3, s28, v18
	s_waitcnt lgkmcnt(0)
	s_sub_i32 s3, s27, s16
	s_mul_i32 s27, s3, s17
	s_mov_b32 s3, 0
	s_branch .LBB90_15
.LBB90_14:                              ;   in Loop: Header=BB90_15 Depth=3
	v_add_nc_u32_e32 v30, s27, v19
	v_lshlrev_b64 v[21:22], 3, v[21:22]
	v_add_nc_u32_e32 v29, s25, v29
	v_ashrrev_i32_e32 v31, 31, v30
	v_add_co_u32 v21, vcc_lo, s14, v21
	v_add_co_ci_u32_e64 v22, null, s15, v22, vcc_lo
	v_lshlrev_b64 v[30:31], 4, v[30:31]
	v_add_co_u32 v30, vcc_lo, s18, v30
	v_add_co_ci_u32_e64 v31, null, s19, v31, vcc_lo
	v_add_co_u32 v19, vcc_lo, v19, 8
	global_load_dwordx2 v[21:22], v[21:22], off
	global_load_dwordx4 v[30:33], v[30:31], off
	v_add_co_ci_u32_e64 v20, null, 0, v20, vcc_lo
	v_cmp_le_i32_e32 vcc_lo, s17, v19
	s_or_b32 s3, vcc_lo, s3
	s_waitcnt vmcnt(0)
	v_fma_f64 v[11:12], v[21:22], v[30:31], v[11:12]
	v_fma_f64 v[9:10], v[30:31], 0, v[9:10]
	;; [unrolled: 1-line block ×4, first 2 shown]
	s_andn2_b32 exec_lo, exec_lo, s3
	s_cbranch_execz .LBB90_10
.LBB90_15:                              ;   Parent Loop BB90_8 Depth=1
                                        ;     Parent Loop BB90_12 Depth=2
                                        ; =>    This Inner Loop Header: Depth=3
	s_and_b32 vcc_lo, exec_lo, s22
	s_cbranch_vccz .LBB90_17
; %bb.16:                               ;   in Loop: Header=BB90_15 Depth=3
	v_ashrrev_i32_e32 v22, 31, v29
	v_add_co_u32 v21, vcc_lo, v17, v29
	v_add_co_ci_u32_e64 v22, null, v18, v22, vcc_lo
	s_cbranch_execnz .LBB90_14
	s_branch .LBB90_18
.LBB90_17:                              ;   in Loop: Header=BB90_15 Depth=3
                                        ; implicit-def: $vgpr21_vgpr22
.LBB90_18:                              ;   in Loop: Header=BB90_15 Depth=3
	v_add_co_u32 v21, vcc_lo, v27, v19
	v_add_co_ci_u32_e64 v22, null, v28, v20, vcc_lo
	s_branch .LBB90_14
.LBB90_19:                              ;   in Loop: Header=BB90_8 Depth=1
	s_waitcnt lgkmcnt(3)
	ds_bpermute_b32 v17, v24, v11
	s_waitcnt lgkmcnt(3)
	ds_bpermute_b32 v18, v24, v12
	;; [unrolled: 2-line block ×4, first 2 shown]
	s_waitcnt lgkmcnt(2)
	v_add_f64 v[11:12], v[11:12], v[17:18]
	s_waitcnt lgkmcnt(0)
	v_add_f64 v[17:18], v[9:10], v[19:20]
	ds_bpermute_b32 v9, v25, v11
	ds_bpermute_b32 v10, v25, v12
	;; [unrolled: 1-line block ×4, first 2 shown]
	s_waitcnt lgkmcnt(2)
	v_add_f64 v[9:10], v[11:12], v[9:10]
	s_waitcnt lgkmcnt(0)
	v_add_f64 v[11:12], v[17:18], v[19:20]
	ds_bpermute_b32 v17, v26, v9
	ds_bpermute_b32 v18, v26, v10
	;; [unrolled: 1-line block ×4, first 2 shown]
	s_and_saveexec_b32 s2, s1
	s_cbranch_execz .LBB90_7
; %bb.20:                               ;   in Loop: Header=BB90_8 Depth=1
	s_waitcnt lgkmcnt(0)
	v_add_f64 v[11:12], v[11:12], v[19:20]
	v_add_f64 v[17:18], v[9:10], v[17:18]
	v_mul_f64 v[9:10], v[11:12], -v[3:4]
	v_mul_f64 v[11:12], v[1:2], v[11:12]
	v_fma_f64 v[9:10], v[1:2], v[17:18], v[9:10]
	v_fma_f64 v[11:12], v[3:4], v[17:18], v[11:12]
	v_add_nc_u32_e32 v17, s6, v13
	v_ashrrev_i32_e32 v18, 31, v17
	s_and_saveexec_b32 s3, s23
	s_xor_b32 s3, exec_lo, s3
	s_cbranch_execz .LBB90_22
; %bb.21:                               ;   in Loop: Header=BB90_8 Depth=1
	v_lshlrev_b64 v[17:18], 4, v[17:18]
	v_add_co_u32 v17, vcc_lo, s8, v17
	v_add_co_ci_u32_e64 v18, null, s9, v18, vcc_lo
	global_store_dwordx4 v[17:18], v[9:12], off
                                        ; implicit-def: $vgpr17
                                        ; implicit-def: $vgpr9_vgpr10
.LBB90_22:                              ;   in Loop: Header=BB90_8 Depth=1
	s_andn2_saveexec_b32 s3, s3
	s_cbranch_execz .LBB90_7
; %bb.23:                               ;   in Loop: Header=BB90_8 Depth=1
	v_lshlrev_b64 v[17:18], 4, v[17:18]
	v_add_co_u32 v21, vcc_lo, s8, v17
	v_add_co_ci_u32_e64 v22, null, s9, v18, vcc_lo
	global_load_dwordx4 v[17:20], v[21:22], off
	s_waitcnt vmcnt(0)
	v_fma_f64 v[9:10], v[5:6], v[17:18], v[9:10]
	v_fma_f64 v[11:12], v[7:8], v[17:18], v[11:12]
	v_fma_f64 v[9:10], -v[7:8], v[19:20], v[9:10]
	v_fma_f64 v[11:12], v[5:6], v[19:20], v[11:12]
	global_store_dwordx4 v[21:22], v[9:12], off
	s_branch .LBB90_7
.LBB90_24:
	s_endpgm
	.section	.rodata,"a",@progbits
	.p2align	6, 0x0
	.amdhsa_kernel _ZN9rocsparseL22bsrxmvn_general_kernelILj64ELj8E21rocsparse_complex_numIdEiidS2_S2_EEv20rocsparse_direction_NS_24const_host_device_scalarIT1_EET3_PKS7_PKT2_SC_S9_PKT4_S7_PKT5_S6_PT6_21rocsparse_index_base_b
		.amdhsa_group_segment_fixed_size 0
		.amdhsa_private_segment_fixed_size 0
		.amdhsa_kernarg_size 120
		.amdhsa_user_sgpr_count 6
		.amdhsa_user_sgpr_private_segment_buffer 1
		.amdhsa_user_sgpr_dispatch_ptr 0
		.amdhsa_user_sgpr_queue_ptr 0
		.amdhsa_user_sgpr_kernarg_segment_ptr 1
		.amdhsa_user_sgpr_dispatch_id 0
		.amdhsa_user_sgpr_flat_scratch_init 0
		.amdhsa_user_sgpr_private_segment_size 0
		.amdhsa_wavefront_size32 1
		.amdhsa_uses_dynamic_stack 0
		.amdhsa_system_sgpr_private_segment_wavefront_offset 0
		.amdhsa_system_sgpr_workgroup_id_x 1
		.amdhsa_system_sgpr_workgroup_id_y 0
		.amdhsa_system_sgpr_workgroup_id_z 0
		.amdhsa_system_sgpr_workgroup_info 0
		.amdhsa_system_vgpr_workitem_id 0
		.amdhsa_next_free_vgpr 34
		.amdhsa_next_free_sgpr 30
		.amdhsa_reserve_vcc 1
		.amdhsa_reserve_flat_scratch 0
		.amdhsa_float_round_mode_32 0
		.amdhsa_float_round_mode_16_64 0
		.amdhsa_float_denorm_mode_32 3
		.amdhsa_float_denorm_mode_16_64 3
		.amdhsa_dx10_clamp 1
		.amdhsa_ieee_mode 1
		.amdhsa_fp16_overflow 0
		.amdhsa_workgroup_processor_mode 1
		.amdhsa_memory_ordered 1
		.amdhsa_forward_progress 1
		.amdhsa_shared_vgpr_count 0
		.amdhsa_exception_fp_ieee_invalid_op 0
		.amdhsa_exception_fp_denorm_src 0
		.amdhsa_exception_fp_ieee_div_zero 0
		.amdhsa_exception_fp_ieee_overflow 0
		.amdhsa_exception_fp_ieee_underflow 0
		.amdhsa_exception_fp_ieee_inexact 0
		.amdhsa_exception_int_div_zero 0
	.end_amdhsa_kernel
	.section	.text._ZN9rocsparseL22bsrxmvn_general_kernelILj64ELj8E21rocsparse_complex_numIdEiidS2_S2_EEv20rocsparse_direction_NS_24const_host_device_scalarIT1_EET3_PKS7_PKT2_SC_S9_PKT4_S7_PKT5_S6_PT6_21rocsparse_index_base_b,"axG",@progbits,_ZN9rocsparseL22bsrxmvn_general_kernelILj64ELj8E21rocsparse_complex_numIdEiidS2_S2_EEv20rocsparse_direction_NS_24const_host_device_scalarIT1_EET3_PKS7_PKT2_SC_S9_PKT4_S7_PKT5_S6_PT6_21rocsparse_index_base_b,comdat
.Lfunc_end90:
	.size	_ZN9rocsparseL22bsrxmvn_general_kernelILj64ELj8E21rocsparse_complex_numIdEiidS2_S2_EEv20rocsparse_direction_NS_24const_host_device_scalarIT1_EET3_PKS7_PKT2_SC_S9_PKT4_S7_PKT5_S6_PT6_21rocsparse_index_base_b, .Lfunc_end90-_ZN9rocsparseL22bsrxmvn_general_kernelILj64ELj8E21rocsparse_complex_numIdEiidS2_S2_EEv20rocsparse_direction_NS_24const_host_device_scalarIT1_EET3_PKS7_PKT2_SC_S9_PKT4_S7_PKT5_S6_PT6_21rocsparse_index_base_b
                                        ; -- End function
	.set _ZN9rocsparseL22bsrxmvn_general_kernelILj64ELj8E21rocsparse_complex_numIdEiidS2_S2_EEv20rocsparse_direction_NS_24const_host_device_scalarIT1_EET3_PKS7_PKT2_SC_S9_PKT4_S7_PKT5_S6_PT6_21rocsparse_index_base_b.num_vgpr, 34
	.set _ZN9rocsparseL22bsrxmvn_general_kernelILj64ELj8E21rocsparse_complex_numIdEiidS2_S2_EEv20rocsparse_direction_NS_24const_host_device_scalarIT1_EET3_PKS7_PKT2_SC_S9_PKT4_S7_PKT5_S6_PT6_21rocsparse_index_base_b.num_agpr, 0
	.set _ZN9rocsparseL22bsrxmvn_general_kernelILj64ELj8E21rocsparse_complex_numIdEiidS2_S2_EEv20rocsparse_direction_NS_24const_host_device_scalarIT1_EET3_PKS7_PKT2_SC_S9_PKT4_S7_PKT5_S6_PT6_21rocsparse_index_base_b.numbered_sgpr, 30
	.set _ZN9rocsparseL22bsrxmvn_general_kernelILj64ELj8E21rocsparse_complex_numIdEiidS2_S2_EEv20rocsparse_direction_NS_24const_host_device_scalarIT1_EET3_PKS7_PKT2_SC_S9_PKT4_S7_PKT5_S6_PT6_21rocsparse_index_base_b.num_named_barrier, 0
	.set _ZN9rocsparseL22bsrxmvn_general_kernelILj64ELj8E21rocsparse_complex_numIdEiidS2_S2_EEv20rocsparse_direction_NS_24const_host_device_scalarIT1_EET3_PKS7_PKT2_SC_S9_PKT4_S7_PKT5_S6_PT6_21rocsparse_index_base_b.private_seg_size, 0
	.set _ZN9rocsparseL22bsrxmvn_general_kernelILj64ELj8E21rocsparse_complex_numIdEiidS2_S2_EEv20rocsparse_direction_NS_24const_host_device_scalarIT1_EET3_PKS7_PKT2_SC_S9_PKT4_S7_PKT5_S6_PT6_21rocsparse_index_base_b.uses_vcc, 1
	.set _ZN9rocsparseL22bsrxmvn_general_kernelILj64ELj8E21rocsparse_complex_numIdEiidS2_S2_EEv20rocsparse_direction_NS_24const_host_device_scalarIT1_EET3_PKS7_PKT2_SC_S9_PKT4_S7_PKT5_S6_PT6_21rocsparse_index_base_b.uses_flat_scratch, 0
	.set _ZN9rocsparseL22bsrxmvn_general_kernelILj64ELj8E21rocsparse_complex_numIdEiidS2_S2_EEv20rocsparse_direction_NS_24const_host_device_scalarIT1_EET3_PKS7_PKT2_SC_S9_PKT4_S7_PKT5_S6_PT6_21rocsparse_index_base_b.has_dyn_sized_stack, 0
	.set _ZN9rocsparseL22bsrxmvn_general_kernelILj64ELj8E21rocsparse_complex_numIdEiidS2_S2_EEv20rocsparse_direction_NS_24const_host_device_scalarIT1_EET3_PKS7_PKT2_SC_S9_PKT4_S7_PKT5_S6_PT6_21rocsparse_index_base_b.has_recursion, 0
	.set _ZN9rocsparseL22bsrxmvn_general_kernelILj64ELj8E21rocsparse_complex_numIdEiidS2_S2_EEv20rocsparse_direction_NS_24const_host_device_scalarIT1_EET3_PKS7_PKT2_SC_S9_PKT4_S7_PKT5_S6_PT6_21rocsparse_index_base_b.has_indirect_call, 0
	.section	.AMDGPU.csdata,"",@progbits
; Kernel info:
; codeLenInByte = 1380
; TotalNumSgprs: 32
; NumVgprs: 34
; ScratchSize: 0
; MemoryBound: 0
; FloatMode: 240
; IeeeMode: 1
; LDSByteSize: 0 bytes/workgroup (compile time only)
; SGPRBlocks: 0
; VGPRBlocks: 4
; NumSGPRsForWavesPerEU: 32
; NumVGPRsForWavesPerEU: 34
; Occupancy: 16
; WaveLimiterHint : 1
; COMPUTE_PGM_RSRC2:SCRATCH_EN: 0
; COMPUTE_PGM_RSRC2:USER_SGPR: 6
; COMPUTE_PGM_RSRC2:TRAP_HANDLER: 0
; COMPUTE_PGM_RSRC2:TGID_X_EN: 1
; COMPUTE_PGM_RSRC2:TGID_Y_EN: 0
; COMPUTE_PGM_RSRC2:TGID_Z_EN: 0
; COMPUTE_PGM_RSRC2:TIDIG_COMP_CNT: 0
	.section	.text._ZN9rocsparseL22bsrxmvn_general_kernelILj256ELj16E21rocsparse_complex_numIdEiidS2_S2_EEv20rocsparse_direction_NS_24const_host_device_scalarIT1_EET3_PKS7_PKT2_SC_S9_PKT4_S7_PKT5_S6_PT6_21rocsparse_index_base_b,"axG",@progbits,_ZN9rocsparseL22bsrxmvn_general_kernelILj256ELj16E21rocsparse_complex_numIdEiidS2_S2_EEv20rocsparse_direction_NS_24const_host_device_scalarIT1_EET3_PKS7_PKT2_SC_S9_PKT4_S7_PKT5_S6_PT6_21rocsparse_index_base_b,comdat
	.globl	_ZN9rocsparseL22bsrxmvn_general_kernelILj256ELj16E21rocsparse_complex_numIdEiidS2_S2_EEv20rocsparse_direction_NS_24const_host_device_scalarIT1_EET3_PKS7_PKT2_SC_S9_PKT4_S7_PKT5_S6_PT6_21rocsparse_index_base_b ; -- Begin function _ZN9rocsparseL22bsrxmvn_general_kernelILj256ELj16E21rocsparse_complex_numIdEiidS2_S2_EEv20rocsparse_direction_NS_24const_host_device_scalarIT1_EET3_PKS7_PKT2_SC_S9_PKT4_S7_PKT5_S6_PT6_21rocsparse_index_base_b
	.p2align	8
	.type	_ZN9rocsparseL22bsrxmvn_general_kernelILj256ELj16E21rocsparse_complex_numIdEiidS2_S2_EEv20rocsparse_direction_NS_24const_host_device_scalarIT1_EET3_PKS7_PKT2_SC_S9_PKT4_S7_PKT5_S6_PT6_21rocsparse_index_base_b,@function
_ZN9rocsparseL22bsrxmvn_general_kernelILj256ELj16E21rocsparse_complex_numIdEiidS2_S2_EEv20rocsparse_direction_NS_24const_host_device_scalarIT1_EET3_PKS7_PKT2_SC_S9_PKT4_S7_PKT5_S6_PT6_21rocsparse_index_base_b: ; @_ZN9rocsparseL22bsrxmvn_general_kernelILj256ELj16E21rocsparse_complex_numIdEiidS2_S2_EEv20rocsparse_direction_NS_24const_host_device_scalarIT1_EET3_PKS7_PKT2_SC_S9_PKT4_S7_PKT5_S6_PT6_21rocsparse_index_base_b
; %bb.0:
	s_clause 0x1
	s_load_dwordx2 s[16:17], s[4:5], 0x70
	s_load_dwordx2 s[0:1], s[4:5], 0x8
	s_add_u32 s7, s4, 8
	s_addc_u32 s8, s5, 0
	s_add_u32 s9, s4, 0x58
	s_addc_u32 s10, s5, 0
	s_load_dwordx2 s[2:3], s[4:5], 0x58
	s_waitcnt lgkmcnt(0)
	s_bitcmp1_b32 s17, 0
	s_cselect_b32 s0, s7, s0
	s_cselect_b32 s1, s8, s1
	v_mov_b32_e32 v1, s0
	v_mov_b32_e32 v2, s1
	s_cselect_b32 s0, s9, s2
	s_cselect_b32 s1, s10, s3
	v_mov_b32_e32 v5, s0
	v_mov_b32_e32 v6, s1
	flat_load_dwordx4 v[1:4], v[1:2]
	flat_load_dwordx4 v[5:8], v[5:6]
	s_waitcnt vmcnt(1) lgkmcnt(1)
	v_cmp_eq_f64_e32 vcc_lo, 0, v[1:2]
	v_cmp_eq_f64_e64 s0, 0, v[3:4]
	s_and_b32 s2, vcc_lo, s0
	s_mov_b32 s0, -1
	s_and_saveexec_b32 s1, s2
	s_cbranch_execz .LBB91_2
; %bb.1:
	s_waitcnt vmcnt(0) lgkmcnt(0)
	v_cmp_neq_f64_e32 vcc_lo, 1.0, v[5:6]
	v_cmp_neq_f64_e64 s0, 0, v[7:8]
	s_or_b32 s0, vcc_lo, s0
	s_orn2_b32 s0, s0, exec_lo
.LBB91_2:
	s_or_b32 exec_lo, exec_lo, s1
	s_and_saveexec_b32 s1, s0
	s_cbranch_execz .LBB91_24
; %bb.3:
	s_load_dwordx2 s[0:1], s[4:5], 0x20
	s_waitcnt lgkmcnt(0)
	s_cmp_eq_u64 s[0:1], 0
	s_cbranch_scc1 .LBB91_5
; %bb.4:
	s_ashr_i32 s7, s6, 31
	s_lshl_b64 s[2:3], s[6:7], 2
	s_add_u32 s0, s0, s2
	s_addc_u32 s1, s1, s3
	s_load_dword s0, s[0:1], 0x0
	s_waitcnt lgkmcnt(0)
	s_sub_i32 s6, s0, s16
.LBB91_5:
	s_load_dword s17, s[4:5], 0x48
	v_lshrrev_b32_e32 v13, 4, v0
	s_waitcnt lgkmcnt(0)
	v_cmp_gt_i32_e32 vcc_lo, s17, v13
	s_and_b32 exec_lo, exec_lo, vcc_lo
	s_cbranch_execz .LBB91_24
; %bb.6:
	s_load_dwordx8 s[8:15], s[4:5], 0x28
	s_ashr_i32 s7, s6, 31
	v_mbcnt_lo_u32_b32 v9, -1, 0
	s_lshl_b64 s[22:23], s[6:7], 2
	s_load_dword s26, s[4:5], 0x0
	s_waitcnt vmcnt(0)
	v_cmp_eq_f64_e32 vcc_lo, 0, v[5:6]
	v_cmp_eq_f64_e64 s2, 0, v[7:8]
	v_xor_b32_e32 v10, 8, v9
	v_xor_b32_e32 v11, 4, v9
	;; [unrolled: 1-line block ×4, first 2 shown]
	v_and_b32_e32 v15, 15, v0
	v_mov_b32_e32 v14, 0
	s_mul_i32 s7, s17, s17
	v_mul_lo_u32 v0, s17, v13
	s_mul_i32 s6, s6, s17
	v_mul_lo_u32 v23, s17, v15
	v_cmp_gt_u32_e64 s0, s17, v15
	v_mov_b32_e32 v16, v14
	s_waitcnt lgkmcnt(0)
	s_add_u32 s24, s8, s22
	s_addc_u32 s25, s9, s23
	s_load_dword s21, s[24:25], 0x0
	s_clause 0x1
	s_load_dwordx2 s[8:9], s[4:5], 0x68
	s_load_dwordx2 s[18:19], s[4:5], 0x50
	s_mul_hi_u32 s5, s17, s17
	s_mov_b32 s4, 0
	s_waitcnt lgkmcnt(0)
	s_sub_i32 s20, s21, s16
	s_add_u32 s1, s24, 4
	s_addc_u32 s3, s25, 0
	s_add_u32 s22, s10, s22
	s_addc_u32 s23, s11, s23
	s_cmp_eq_u64 s[10:11], 0
	s_cselect_b32 s11, s3, s23
	s_cselect_b32 s10, s1, s22
	v_cmp_gt_i32_e64 s3, 32, v10
	s_load_dword s11, s[10:11], 0x0
	s_mul_hi_u32 s23, s20, s7
	v_cmp_eq_u32_e64 s1, 15, v15
	v_cndmask_b32_e64 v10, v9, v10, s3
	v_cmp_gt_i32_e64 s3, 32, v11
	v_lshlrev_b32_e32 v24, 2, v10
	v_cndmask_b32_e64 v11, v9, v11, s3
	v_cmp_gt_i32_e64 s3, 32, v12
	v_lshlrev_b32_e32 v25, 2, v11
	v_cndmask_b32_e64 v12, v9, v12, s3
	v_cmp_gt_i32_e64 s3, 32, v17
	s_waitcnt lgkmcnt(0)
	s_sub_i32 s10, s11, s16
	s_cmp_lt_i32 s21, s11
	v_cndmask_b32_e64 v9, v9, v17, s3
	s_cselect_b32 s21, -1, 0
	s_cmp_lg_u32 s26, 0
	s_mul_i32 s3, s20, s5
	s_cselect_b32 s22, -1, 0
	s_ashr_i32 s24, s20, 31
	v_lshlrev_b32_e32 v26, 2, v12
	v_lshlrev_b32_e32 v27, 2, v9
	s_add_i32 s3, s23, s3
	s_mul_i32 s24, s24, s7
	s_mul_i32 s11, s20, s7
	s_and_b32 s23, vcc_lo, s2
	s_add_i32 s24, s3, s24
	s_lshl_b32 s25, s17, 4
	s_branch .LBB91_8
.LBB91_7:                               ;   in Loop: Header=BB91_8 Depth=1
	s_or_b32 exec_lo, exec_lo, s2
	v_add_nc_u32_e32 v13, 16, v13
	v_add_nc_u32_e32 v0, s25, v0
	v_cmp_le_i32_e32 vcc_lo, s17, v13
	s_or_b32 s4, vcc_lo, s4
	s_andn2_b32 exec_lo, exec_lo, s4
	s_cbranch_execz .LBB91_24
.LBB91_8:                               ; =>This Loop Header: Depth=1
                                        ;     Child Loop BB91_12 Depth 2
                                        ;       Child Loop BB91_15 Depth 3
	v_mov_b32_e32 v9, 0
	v_mov_b32_e32 v11, 0
	;; [unrolled: 1-line block ×4, first 2 shown]
	s_andn2_b32 vcc_lo, exec_lo, s21
	s_cbranch_vccnz .LBB91_19
; %bb.9:                                ;   in Loop: Header=BB91_8 Depth=1
	s_waitcnt lgkmcnt(3)
	v_ashrrev_i32_e32 v17, 31, v0
	v_add_co_u32 v28, vcc_lo, s11, v0
	v_mov_b32_e32 v9, 0
	v_mov_b32_e32 v11, 0
	v_mov_b32_e32 v10, 0
	v_mov_b32_e32 v12, 0
	v_add_co_ci_u32_e64 v29, null, s24, v17, vcc_lo
	s_mov_b32 s2, s20
	s_branch .LBB91_12
.LBB91_10:                              ;   in Loop: Header=BB91_12 Depth=2
	s_or_b32 exec_lo, exec_lo, s3
.LBB91_11:                              ;   in Loop: Header=BB91_12 Depth=2
	s_or_b32 exec_lo, exec_lo, s26
	v_add_co_u32 v28, vcc_lo, v28, s7
	v_add_co_ci_u32_e64 v29, null, s5, v29, vcc_lo
	s_add_i32 s2, s2, 1
	s_cmp_ge_i32 s2, s10
	s_cbranch_scc1 .LBB91_19
.LBB91_12:                              ;   Parent Loop BB91_8 Depth=1
                                        ; =>  This Loop Header: Depth=2
                                        ;       Child Loop BB91_15 Depth 3
	s_and_saveexec_b32 s26, s0
	s_cbranch_execz .LBB91_11
; %bb.13:                               ;   in Loop: Header=BB91_12 Depth=2
	s_ashr_i32 s3, s2, 31
	s_waitcnt lgkmcnt(2)
	v_mad_u64_u32 v[17:18], null, s7, s2, v[13:14]
	s_lshl_b64 s[28:29], s[2:3], 2
	s_mul_i32 s3, s7, s3
	s_add_u32 s28, s12, s28
	s_addc_u32 s29, s13, s29
	s_waitcnt lgkmcnt(0)
	v_mov_b32_e32 v20, v16
	s_load_dword s27, s[28:29], 0x0
	s_mul_i32 s28, s5, s2
	v_mov_b32_e32 v30, v23
	v_mov_b32_e32 v19, v15
	v_add3_u32 v18, s3, s28, v18
	s_waitcnt lgkmcnt(0)
	s_sub_i32 s3, s27, s16
	s_mul_i32 s27, s3, s17
	s_mov_b32 s3, 0
	s_branch .LBB91_15
.LBB91_14:                              ;   in Loop: Header=BB91_15 Depth=3
	v_add_nc_u32_e32 v31, s27, v19
	v_lshlrev_b64 v[21:22], 3, v[21:22]
	v_add_nc_u32_e32 v30, s25, v30
	v_ashrrev_i32_e32 v32, 31, v31
	v_add_co_u32 v21, vcc_lo, s14, v21
	v_add_co_ci_u32_e64 v22, null, s15, v22, vcc_lo
	v_lshlrev_b64 v[31:32], 4, v[31:32]
	v_add_co_u32 v31, vcc_lo, s18, v31
	v_add_co_ci_u32_e64 v32, null, s19, v32, vcc_lo
	v_add_co_u32 v19, vcc_lo, v19, 16
	global_load_dwordx2 v[21:22], v[21:22], off
	global_load_dwordx4 v[31:34], v[31:32], off
	v_add_co_ci_u32_e64 v20, null, 0, v20, vcc_lo
	v_cmp_le_i32_e32 vcc_lo, s17, v19
	s_or_b32 s3, vcc_lo, s3
	s_waitcnt vmcnt(0)
	v_fma_f64 v[11:12], v[21:22], v[31:32], v[11:12]
	v_fma_f64 v[9:10], v[31:32], 0, v[9:10]
	;; [unrolled: 1-line block ×4, first 2 shown]
	s_andn2_b32 exec_lo, exec_lo, s3
	s_cbranch_execz .LBB91_10
.LBB91_15:                              ;   Parent Loop BB91_8 Depth=1
                                        ;     Parent Loop BB91_12 Depth=2
                                        ; =>    This Inner Loop Header: Depth=3
	s_and_b32 vcc_lo, exec_lo, s22
	s_cbranch_vccz .LBB91_17
; %bb.16:                               ;   in Loop: Header=BB91_15 Depth=3
	v_ashrrev_i32_e32 v22, 31, v30
	v_add_co_u32 v21, vcc_lo, v17, v30
	v_add_co_ci_u32_e64 v22, null, v18, v22, vcc_lo
	s_cbranch_execnz .LBB91_14
	s_branch .LBB91_18
.LBB91_17:                              ;   in Loop: Header=BB91_15 Depth=3
                                        ; implicit-def: $vgpr21_vgpr22
.LBB91_18:                              ;   in Loop: Header=BB91_15 Depth=3
	v_add_co_u32 v21, vcc_lo, v28, v19
	v_add_co_ci_u32_e64 v22, null, v29, v20, vcc_lo
	s_branch .LBB91_14
.LBB91_19:                              ;   in Loop: Header=BB91_8 Depth=1
	s_waitcnt lgkmcnt(3)
	ds_bpermute_b32 v17, v24, v11
	s_waitcnt lgkmcnt(3)
	ds_bpermute_b32 v18, v24, v12
	;; [unrolled: 2-line block ×4, first 2 shown]
	s_waitcnt lgkmcnt(2)
	v_add_f64 v[11:12], v[11:12], v[17:18]
	s_waitcnt lgkmcnt(0)
	v_add_f64 v[9:10], v[9:10], v[19:20]
	ds_bpermute_b32 v17, v25, v11
	ds_bpermute_b32 v18, v25, v12
	ds_bpermute_b32 v19, v25, v9
	ds_bpermute_b32 v20, v25, v10
	s_waitcnt lgkmcnt(2)
	v_add_f64 v[11:12], v[11:12], v[17:18]
	s_waitcnt lgkmcnt(0)
	v_add_f64 v[17:18], v[9:10], v[19:20]
	ds_bpermute_b32 v9, v26, v11
	ds_bpermute_b32 v10, v26, v12
	ds_bpermute_b32 v19, v26, v17
	ds_bpermute_b32 v20, v26, v18
	;; [unrolled: 8-line block ×3, first 2 shown]
	s_and_saveexec_b32 s2, s1
	s_cbranch_execz .LBB91_7
; %bb.20:                               ;   in Loop: Header=BB91_8 Depth=1
	s_waitcnt lgkmcnt(0)
	v_add_f64 v[11:12], v[11:12], v[19:20]
	v_add_f64 v[17:18], v[9:10], v[17:18]
	v_mul_f64 v[9:10], v[11:12], -v[3:4]
	v_mul_f64 v[11:12], v[1:2], v[11:12]
	v_fma_f64 v[9:10], v[1:2], v[17:18], v[9:10]
	v_fma_f64 v[11:12], v[3:4], v[17:18], v[11:12]
	v_add_nc_u32_e32 v17, s6, v13
	v_ashrrev_i32_e32 v18, 31, v17
	s_and_saveexec_b32 s3, s23
	s_xor_b32 s3, exec_lo, s3
	s_cbranch_execz .LBB91_22
; %bb.21:                               ;   in Loop: Header=BB91_8 Depth=1
	v_lshlrev_b64 v[17:18], 4, v[17:18]
	v_add_co_u32 v17, vcc_lo, s8, v17
	v_add_co_ci_u32_e64 v18, null, s9, v18, vcc_lo
	global_store_dwordx4 v[17:18], v[9:12], off
                                        ; implicit-def: $vgpr17
                                        ; implicit-def: $vgpr9_vgpr10
.LBB91_22:                              ;   in Loop: Header=BB91_8 Depth=1
	s_andn2_saveexec_b32 s3, s3
	s_cbranch_execz .LBB91_7
; %bb.23:                               ;   in Loop: Header=BB91_8 Depth=1
	v_lshlrev_b64 v[17:18], 4, v[17:18]
	v_add_co_u32 v21, vcc_lo, s8, v17
	v_add_co_ci_u32_e64 v22, null, s9, v18, vcc_lo
	global_load_dwordx4 v[17:20], v[21:22], off
	s_waitcnt vmcnt(0)
	v_fma_f64 v[9:10], v[5:6], v[17:18], v[9:10]
	v_fma_f64 v[11:12], v[7:8], v[17:18], v[11:12]
	v_fma_f64 v[9:10], -v[7:8], v[19:20], v[9:10]
	v_fma_f64 v[11:12], v[5:6], v[19:20], v[11:12]
	global_store_dwordx4 v[21:22], v[9:12], off
	s_branch .LBB91_7
.LBB91_24:
	s_endpgm
	.section	.rodata,"a",@progbits
	.p2align	6, 0x0
	.amdhsa_kernel _ZN9rocsparseL22bsrxmvn_general_kernelILj256ELj16E21rocsparse_complex_numIdEiidS2_S2_EEv20rocsparse_direction_NS_24const_host_device_scalarIT1_EET3_PKS7_PKT2_SC_S9_PKT4_S7_PKT5_S6_PT6_21rocsparse_index_base_b
		.amdhsa_group_segment_fixed_size 0
		.amdhsa_private_segment_fixed_size 0
		.amdhsa_kernarg_size 120
		.amdhsa_user_sgpr_count 6
		.amdhsa_user_sgpr_private_segment_buffer 1
		.amdhsa_user_sgpr_dispatch_ptr 0
		.amdhsa_user_sgpr_queue_ptr 0
		.amdhsa_user_sgpr_kernarg_segment_ptr 1
		.amdhsa_user_sgpr_dispatch_id 0
		.amdhsa_user_sgpr_flat_scratch_init 0
		.amdhsa_user_sgpr_private_segment_size 0
		.amdhsa_wavefront_size32 1
		.amdhsa_uses_dynamic_stack 0
		.amdhsa_system_sgpr_private_segment_wavefront_offset 0
		.amdhsa_system_sgpr_workgroup_id_x 1
		.amdhsa_system_sgpr_workgroup_id_y 0
		.amdhsa_system_sgpr_workgroup_id_z 0
		.amdhsa_system_sgpr_workgroup_info 0
		.amdhsa_system_vgpr_workitem_id 0
		.amdhsa_next_free_vgpr 35
		.amdhsa_next_free_sgpr 30
		.amdhsa_reserve_vcc 1
		.amdhsa_reserve_flat_scratch 0
		.amdhsa_float_round_mode_32 0
		.amdhsa_float_round_mode_16_64 0
		.amdhsa_float_denorm_mode_32 3
		.amdhsa_float_denorm_mode_16_64 3
		.amdhsa_dx10_clamp 1
		.amdhsa_ieee_mode 1
		.amdhsa_fp16_overflow 0
		.amdhsa_workgroup_processor_mode 1
		.amdhsa_memory_ordered 1
		.amdhsa_forward_progress 1
		.amdhsa_shared_vgpr_count 0
		.amdhsa_exception_fp_ieee_invalid_op 0
		.amdhsa_exception_fp_denorm_src 0
		.amdhsa_exception_fp_ieee_div_zero 0
		.amdhsa_exception_fp_ieee_overflow 0
		.amdhsa_exception_fp_ieee_underflow 0
		.amdhsa_exception_fp_ieee_inexact 0
		.amdhsa_exception_int_div_zero 0
	.end_amdhsa_kernel
	.section	.text._ZN9rocsparseL22bsrxmvn_general_kernelILj256ELj16E21rocsparse_complex_numIdEiidS2_S2_EEv20rocsparse_direction_NS_24const_host_device_scalarIT1_EET3_PKS7_PKT2_SC_S9_PKT4_S7_PKT5_S6_PT6_21rocsparse_index_base_b,"axG",@progbits,_ZN9rocsparseL22bsrxmvn_general_kernelILj256ELj16E21rocsparse_complex_numIdEiidS2_S2_EEv20rocsparse_direction_NS_24const_host_device_scalarIT1_EET3_PKS7_PKT2_SC_S9_PKT4_S7_PKT5_S6_PT6_21rocsparse_index_base_b,comdat
.Lfunc_end91:
	.size	_ZN9rocsparseL22bsrxmvn_general_kernelILj256ELj16E21rocsparse_complex_numIdEiidS2_S2_EEv20rocsparse_direction_NS_24const_host_device_scalarIT1_EET3_PKS7_PKT2_SC_S9_PKT4_S7_PKT5_S6_PT6_21rocsparse_index_base_b, .Lfunc_end91-_ZN9rocsparseL22bsrxmvn_general_kernelILj256ELj16E21rocsparse_complex_numIdEiidS2_S2_EEv20rocsparse_direction_NS_24const_host_device_scalarIT1_EET3_PKS7_PKT2_SC_S9_PKT4_S7_PKT5_S6_PT6_21rocsparse_index_base_b
                                        ; -- End function
	.set _ZN9rocsparseL22bsrxmvn_general_kernelILj256ELj16E21rocsparse_complex_numIdEiidS2_S2_EEv20rocsparse_direction_NS_24const_host_device_scalarIT1_EET3_PKS7_PKT2_SC_S9_PKT4_S7_PKT5_S6_PT6_21rocsparse_index_base_b.num_vgpr, 35
	.set _ZN9rocsparseL22bsrxmvn_general_kernelILj256ELj16E21rocsparse_complex_numIdEiidS2_S2_EEv20rocsparse_direction_NS_24const_host_device_scalarIT1_EET3_PKS7_PKT2_SC_S9_PKT4_S7_PKT5_S6_PT6_21rocsparse_index_base_b.num_agpr, 0
	.set _ZN9rocsparseL22bsrxmvn_general_kernelILj256ELj16E21rocsparse_complex_numIdEiidS2_S2_EEv20rocsparse_direction_NS_24const_host_device_scalarIT1_EET3_PKS7_PKT2_SC_S9_PKT4_S7_PKT5_S6_PT6_21rocsparse_index_base_b.numbered_sgpr, 30
	.set _ZN9rocsparseL22bsrxmvn_general_kernelILj256ELj16E21rocsparse_complex_numIdEiidS2_S2_EEv20rocsparse_direction_NS_24const_host_device_scalarIT1_EET3_PKS7_PKT2_SC_S9_PKT4_S7_PKT5_S6_PT6_21rocsparse_index_base_b.num_named_barrier, 0
	.set _ZN9rocsparseL22bsrxmvn_general_kernelILj256ELj16E21rocsparse_complex_numIdEiidS2_S2_EEv20rocsparse_direction_NS_24const_host_device_scalarIT1_EET3_PKS7_PKT2_SC_S9_PKT4_S7_PKT5_S6_PT6_21rocsparse_index_base_b.private_seg_size, 0
	.set _ZN9rocsparseL22bsrxmvn_general_kernelILj256ELj16E21rocsparse_complex_numIdEiidS2_S2_EEv20rocsparse_direction_NS_24const_host_device_scalarIT1_EET3_PKS7_PKT2_SC_S9_PKT4_S7_PKT5_S6_PT6_21rocsparse_index_base_b.uses_vcc, 1
	.set _ZN9rocsparseL22bsrxmvn_general_kernelILj256ELj16E21rocsparse_complex_numIdEiidS2_S2_EEv20rocsparse_direction_NS_24const_host_device_scalarIT1_EET3_PKS7_PKT2_SC_S9_PKT4_S7_PKT5_S6_PT6_21rocsparse_index_base_b.uses_flat_scratch, 0
	.set _ZN9rocsparseL22bsrxmvn_general_kernelILj256ELj16E21rocsparse_complex_numIdEiidS2_S2_EEv20rocsparse_direction_NS_24const_host_device_scalarIT1_EET3_PKS7_PKT2_SC_S9_PKT4_S7_PKT5_S6_PT6_21rocsparse_index_base_b.has_dyn_sized_stack, 0
	.set _ZN9rocsparseL22bsrxmvn_general_kernelILj256ELj16E21rocsparse_complex_numIdEiidS2_S2_EEv20rocsparse_direction_NS_24const_host_device_scalarIT1_EET3_PKS7_PKT2_SC_S9_PKT4_S7_PKT5_S6_PT6_21rocsparse_index_base_b.has_recursion, 0
	.set _ZN9rocsparseL22bsrxmvn_general_kernelILj256ELj16E21rocsparse_complex_numIdEiidS2_S2_EEv20rocsparse_direction_NS_24const_host_device_scalarIT1_EET3_PKS7_PKT2_SC_S9_PKT4_S7_PKT5_S6_PT6_21rocsparse_index_base_b.has_indirect_call, 0
	.section	.AMDGPU.csdata,"",@progbits
; Kernel info:
; codeLenInByte = 1460
; TotalNumSgprs: 32
; NumVgprs: 35
; ScratchSize: 0
; MemoryBound: 0
; FloatMode: 240
; IeeeMode: 1
; LDSByteSize: 0 bytes/workgroup (compile time only)
; SGPRBlocks: 0
; VGPRBlocks: 4
; NumSGPRsForWavesPerEU: 32
; NumVGPRsForWavesPerEU: 35
; Occupancy: 16
; WaveLimiterHint : 1
; COMPUTE_PGM_RSRC2:SCRATCH_EN: 0
; COMPUTE_PGM_RSRC2:USER_SGPR: 6
; COMPUTE_PGM_RSRC2:TRAP_HANDLER: 0
; COMPUTE_PGM_RSRC2:TGID_X_EN: 1
; COMPUTE_PGM_RSRC2:TGID_Y_EN: 0
; COMPUTE_PGM_RSRC2:TGID_Z_EN: 0
; COMPUTE_PGM_RSRC2:TIDIG_COMP_CNT: 0
	.section	.text._ZN9rocsparseL22bsrxmvn_general_kernelILj1024ELj32E21rocsparse_complex_numIdEiidS2_S2_EEv20rocsparse_direction_NS_24const_host_device_scalarIT1_EET3_PKS7_PKT2_SC_S9_PKT4_S7_PKT5_S6_PT6_21rocsparse_index_base_b,"axG",@progbits,_ZN9rocsparseL22bsrxmvn_general_kernelILj1024ELj32E21rocsparse_complex_numIdEiidS2_S2_EEv20rocsparse_direction_NS_24const_host_device_scalarIT1_EET3_PKS7_PKT2_SC_S9_PKT4_S7_PKT5_S6_PT6_21rocsparse_index_base_b,comdat
	.globl	_ZN9rocsparseL22bsrxmvn_general_kernelILj1024ELj32E21rocsparse_complex_numIdEiidS2_S2_EEv20rocsparse_direction_NS_24const_host_device_scalarIT1_EET3_PKS7_PKT2_SC_S9_PKT4_S7_PKT5_S6_PT6_21rocsparse_index_base_b ; -- Begin function _ZN9rocsparseL22bsrxmvn_general_kernelILj1024ELj32E21rocsparse_complex_numIdEiidS2_S2_EEv20rocsparse_direction_NS_24const_host_device_scalarIT1_EET3_PKS7_PKT2_SC_S9_PKT4_S7_PKT5_S6_PT6_21rocsparse_index_base_b
	.p2align	8
	.type	_ZN9rocsparseL22bsrxmvn_general_kernelILj1024ELj32E21rocsparse_complex_numIdEiidS2_S2_EEv20rocsparse_direction_NS_24const_host_device_scalarIT1_EET3_PKS7_PKT2_SC_S9_PKT4_S7_PKT5_S6_PT6_21rocsparse_index_base_b,@function
_ZN9rocsparseL22bsrxmvn_general_kernelILj1024ELj32E21rocsparse_complex_numIdEiidS2_S2_EEv20rocsparse_direction_NS_24const_host_device_scalarIT1_EET3_PKS7_PKT2_SC_S9_PKT4_S7_PKT5_S6_PT6_21rocsparse_index_base_b: ; @_ZN9rocsparseL22bsrxmvn_general_kernelILj1024ELj32E21rocsparse_complex_numIdEiidS2_S2_EEv20rocsparse_direction_NS_24const_host_device_scalarIT1_EET3_PKS7_PKT2_SC_S9_PKT4_S7_PKT5_S6_PT6_21rocsparse_index_base_b
; %bb.0:
	s_clause 0x1
	s_load_dwordx2 s[16:17], s[4:5], 0x70
	s_load_dwordx2 s[0:1], s[4:5], 0x8
	s_add_u32 s7, s4, 8
	s_addc_u32 s8, s5, 0
	s_add_u32 s9, s4, 0x58
	s_addc_u32 s10, s5, 0
	s_load_dwordx2 s[2:3], s[4:5], 0x58
	s_waitcnt lgkmcnt(0)
	s_bitcmp1_b32 s17, 0
	s_cselect_b32 s0, s7, s0
	s_cselect_b32 s1, s8, s1
	v_mov_b32_e32 v1, s0
	v_mov_b32_e32 v2, s1
	s_cselect_b32 s0, s9, s2
	s_cselect_b32 s1, s10, s3
	v_mov_b32_e32 v5, s0
	v_mov_b32_e32 v6, s1
	flat_load_dwordx4 v[1:4], v[1:2]
	flat_load_dwordx4 v[5:8], v[5:6]
	s_waitcnt vmcnt(1) lgkmcnt(1)
	v_cmp_eq_f64_e32 vcc_lo, 0, v[1:2]
	v_cmp_eq_f64_e64 s0, 0, v[3:4]
	s_and_b32 s2, vcc_lo, s0
	s_mov_b32 s0, -1
	s_and_saveexec_b32 s1, s2
	s_cbranch_execz .LBB92_2
; %bb.1:
	s_waitcnt vmcnt(0) lgkmcnt(0)
	v_cmp_neq_f64_e32 vcc_lo, 1.0, v[5:6]
	v_cmp_neq_f64_e64 s0, 0, v[7:8]
	s_or_b32 s0, vcc_lo, s0
	s_orn2_b32 s0, s0, exec_lo
.LBB92_2:
	s_or_b32 exec_lo, exec_lo, s1
	s_and_saveexec_b32 s1, s0
	s_cbranch_execz .LBB92_24
; %bb.3:
	s_load_dwordx2 s[0:1], s[4:5], 0x20
	s_waitcnt lgkmcnt(0)
	s_cmp_eq_u64 s[0:1], 0
	s_cbranch_scc1 .LBB92_5
; %bb.4:
	s_ashr_i32 s7, s6, 31
	s_lshl_b64 s[2:3], s[6:7], 2
	s_add_u32 s0, s0, s2
	s_addc_u32 s1, s1, s3
	s_load_dword s0, s[0:1], 0x0
	s_waitcnt lgkmcnt(0)
	s_sub_i32 s6, s0, s16
.LBB92_5:
	s_load_dword s17, s[4:5], 0x48
	v_lshrrev_b32_e32 v13, 5, v0
	s_waitcnt lgkmcnt(0)
	v_cmp_gt_i32_e32 vcc_lo, s17, v13
	s_and_b32 exec_lo, exec_lo, vcc_lo
	s_cbranch_execz .LBB92_24
; %bb.6:
	s_load_dwordx8 s[8:15], s[4:5], 0x28
	s_ashr_i32 s7, s6, 31
	v_mbcnt_lo_u32_b32 v9, -1, 0
	s_lshl_b64 s[22:23], s[6:7], 2
	s_load_dword s26, s[4:5], 0x0
	s_waitcnt vmcnt(0)
	v_cmp_eq_f64_e32 vcc_lo, 0, v[5:6]
	v_cmp_eq_f64_e64 s2, 0, v[7:8]
	v_xor_b32_e32 v10, 16, v9
	v_xor_b32_e32 v11, 8, v9
	;; [unrolled: 1-line block ×5, first 2 shown]
	v_and_b32_e32 v15, 31, v0
	v_mov_b32_e32 v14, 0
	s_mul_i32 s7, s17, s17
	v_mul_lo_u32 v0, s17, v13
	s_mul_i32 s6, s6, s17
	v_mul_lo_u32 v23, s17, v15
	v_cmp_gt_u32_e64 s0, s17, v15
	v_mov_b32_e32 v16, v14
	s_waitcnt lgkmcnt(0)
	s_add_u32 s24, s8, s22
	s_addc_u32 s25, s9, s23
	s_load_dword s21, s[24:25], 0x0
	s_clause 0x1
	s_load_dwordx2 s[8:9], s[4:5], 0x68
	s_load_dwordx2 s[18:19], s[4:5], 0x50
	s_mul_hi_u32 s5, s17, s17
	s_mov_b32 s4, 0
	s_waitcnt lgkmcnt(0)
	s_sub_i32 s20, s21, s16
	s_add_u32 s1, s24, 4
	s_addc_u32 s3, s25, 0
	s_add_u32 s22, s10, s22
	s_addc_u32 s23, s11, s23
	s_cmp_eq_u64 s[10:11], 0
	s_cselect_b32 s11, s3, s23
	v_cmp_gt_i32_e64 s3, 32, v10
	s_cselect_b32 s10, s1, s22
	s_mul_hi_u32 s23, s20, s7
	s_load_dword s11, s[10:11], 0x0
	v_cmp_eq_u32_e64 s1, 31, v15
	v_cndmask_b32_e64 v10, v9, v10, s3
	v_cmp_gt_i32_e64 s3, 32, v11
	v_lshlrev_b32_e32 v24, 2, v10
	v_cndmask_b32_e64 v11, v9, v11, s3
	v_cmp_gt_i32_e64 s3, 32, v12
	v_lshlrev_b32_e32 v25, 2, v11
	;; [unrolled: 3-line block ×3, first 2 shown]
	v_cndmask_b32_e64 v17, v9, v17, s3
	v_cmp_gt_i32_e64 s3, 32, v18
	s_waitcnt lgkmcnt(0)
	s_sub_i32 s10, s11, s16
	s_cmp_lt_i32 s21, s11
	s_mul_i32 s11, s20, s7
	s_cselect_b32 s21, -1, 0
	v_cndmask_b32_e64 v9, v9, v18, s3
	s_cmp_lg_u32 s26, 0
	s_mul_i32 s3, s20, s5
	s_cselect_b32 s22, -1, 0
	s_ashr_i32 s24, s20, 31
	v_lshlrev_b32_e32 v27, 2, v17
	v_lshlrev_b32_e32 v28, 2, v9
	s_add_i32 s3, s23, s3
	s_mul_i32 s24, s24, s7
	s_and_b32 s23, vcc_lo, s2
	s_add_i32 s24, s3, s24
	s_lshl_b32 s25, s17, 5
	s_branch .LBB92_8
.LBB92_7:                               ;   in Loop: Header=BB92_8 Depth=1
	s_or_b32 exec_lo, exec_lo, s2
	v_add_nc_u32_e32 v13, 32, v13
	v_add_nc_u32_e32 v0, s25, v0
	v_cmp_le_i32_e32 vcc_lo, s17, v13
	s_or_b32 s4, vcc_lo, s4
	s_andn2_b32 exec_lo, exec_lo, s4
	s_cbranch_execz .LBB92_24
.LBB92_8:                               ; =>This Loop Header: Depth=1
                                        ;     Child Loop BB92_12 Depth 2
                                        ;       Child Loop BB92_15 Depth 3
	v_mov_b32_e32 v9, 0
	v_mov_b32_e32 v11, 0
	;; [unrolled: 1-line block ×4, first 2 shown]
	s_andn2_b32 vcc_lo, exec_lo, s21
	s_cbranch_vccnz .LBB92_19
; %bb.9:                                ;   in Loop: Header=BB92_8 Depth=1
	s_waitcnt lgkmcnt(3)
	v_ashrrev_i32_e32 v17, 31, v0
	v_add_co_u32 v29, vcc_lo, s11, v0
	v_mov_b32_e32 v9, 0
	v_mov_b32_e32 v11, 0
	;; [unrolled: 1-line block ×4, first 2 shown]
	v_add_co_ci_u32_e64 v30, null, s24, v17, vcc_lo
	s_mov_b32 s2, s20
	s_branch .LBB92_12
.LBB92_10:                              ;   in Loop: Header=BB92_12 Depth=2
	s_or_b32 exec_lo, exec_lo, s3
.LBB92_11:                              ;   in Loop: Header=BB92_12 Depth=2
	s_or_b32 exec_lo, exec_lo, s26
	v_add_co_u32 v29, vcc_lo, v29, s7
	v_add_co_ci_u32_e64 v30, null, s5, v30, vcc_lo
	s_add_i32 s2, s2, 1
	s_cmp_ge_i32 s2, s10
	s_cbranch_scc1 .LBB92_19
.LBB92_12:                              ;   Parent Loop BB92_8 Depth=1
                                        ; =>  This Loop Header: Depth=2
                                        ;       Child Loop BB92_15 Depth 3
	s_and_saveexec_b32 s26, s0
	s_cbranch_execz .LBB92_11
; %bb.13:                               ;   in Loop: Header=BB92_12 Depth=2
	s_ashr_i32 s3, s2, 31
	s_waitcnt lgkmcnt(2)
	v_mad_u64_u32 v[17:18], null, s7, s2, v[13:14]
	s_lshl_b64 s[28:29], s[2:3], 2
	s_mul_i32 s3, s7, s3
	s_add_u32 s28, s12, s28
	s_addc_u32 s29, s13, s29
	s_waitcnt lgkmcnt(0)
	v_mov_b32_e32 v20, v16
	s_load_dword s27, s[28:29], 0x0
	s_mul_i32 s28, s5, s2
	v_mov_b32_e32 v31, v23
	v_mov_b32_e32 v19, v15
	v_add3_u32 v18, s3, s28, v18
	s_waitcnt lgkmcnt(0)
	s_sub_i32 s3, s27, s16
	s_mul_i32 s27, s3, s17
	s_mov_b32 s3, 0
	s_branch .LBB92_15
.LBB92_14:                              ;   in Loop: Header=BB92_15 Depth=3
	v_add_nc_u32_e32 v32, s27, v19
	v_lshlrev_b64 v[21:22], 3, v[21:22]
	v_add_nc_u32_e32 v31, s25, v31
	v_ashrrev_i32_e32 v33, 31, v32
	v_add_co_u32 v21, vcc_lo, s14, v21
	v_add_co_ci_u32_e64 v22, null, s15, v22, vcc_lo
	v_lshlrev_b64 v[32:33], 4, v[32:33]
	v_add_co_u32 v32, vcc_lo, s18, v32
	v_add_co_ci_u32_e64 v33, null, s19, v33, vcc_lo
	v_add_co_u32 v19, vcc_lo, v19, 32
	global_load_dwordx2 v[21:22], v[21:22], off
	global_load_dwordx4 v[32:35], v[32:33], off
	v_add_co_ci_u32_e64 v20, null, 0, v20, vcc_lo
	v_cmp_le_i32_e32 vcc_lo, s17, v19
	s_or_b32 s3, vcc_lo, s3
	s_waitcnt vmcnt(0)
	v_fma_f64 v[11:12], v[21:22], v[32:33], v[11:12]
	v_fma_f64 v[9:10], v[32:33], 0, v[9:10]
	;; [unrolled: 1-line block ×4, first 2 shown]
	s_andn2_b32 exec_lo, exec_lo, s3
	s_cbranch_execz .LBB92_10
.LBB92_15:                              ;   Parent Loop BB92_8 Depth=1
                                        ;     Parent Loop BB92_12 Depth=2
                                        ; =>    This Inner Loop Header: Depth=3
	s_and_b32 vcc_lo, exec_lo, s22
	s_cbranch_vccz .LBB92_17
; %bb.16:                               ;   in Loop: Header=BB92_15 Depth=3
	v_ashrrev_i32_e32 v22, 31, v31
	v_add_co_u32 v21, vcc_lo, v17, v31
	v_add_co_ci_u32_e64 v22, null, v18, v22, vcc_lo
	s_cbranch_execnz .LBB92_14
	s_branch .LBB92_18
.LBB92_17:                              ;   in Loop: Header=BB92_15 Depth=3
                                        ; implicit-def: $vgpr21_vgpr22
.LBB92_18:                              ;   in Loop: Header=BB92_15 Depth=3
	v_add_co_u32 v21, vcc_lo, v29, v19
	v_add_co_ci_u32_e64 v22, null, v30, v20, vcc_lo
	s_branch .LBB92_14
.LBB92_19:                              ;   in Loop: Header=BB92_8 Depth=1
	s_waitcnt lgkmcnt(3)
	ds_bpermute_b32 v17, v24, v11
	s_waitcnt lgkmcnt(3)
	ds_bpermute_b32 v18, v24, v12
	;; [unrolled: 2-line block ×4, first 2 shown]
	s_waitcnt lgkmcnt(2)
	v_add_f64 v[11:12], v[11:12], v[17:18]
	s_waitcnt lgkmcnt(0)
	v_add_f64 v[9:10], v[9:10], v[19:20]
	ds_bpermute_b32 v17, v25, v11
	ds_bpermute_b32 v18, v25, v12
	ds_bpermute_b32 v19, v25, v9
	ds_bpermute_b32 v20, v25, v10
	s_waitcnt lgkmcnt(2)
	v_add_f64 v[11:12], v[11:12], v[17:18]
	s_waitcnt lgkmcnt(0)
	v_add_f64 v[9:10], v[9:10], v[19:20]
	ds_bpermute_b32 v17, v26, v11
	ds_bpermute_b32 v18, v26, v12
	ds_bpermute_b32 v19, v26, v9
	ds_bpermute_b32 v20, v26, v10
	;; [unrolled: 8-line block ×4, first 2 shown]
	s_and_saveexec_b32 s2, s1
	s_cbranch_execz .LBB92_7
; %bb.20:                               ;   in Loop: Header=BB92_8 Depth=1
	s_waitcnt lgkmcnt(0)
	v_add_f64 v[11:12], v[11:12], v[19:20]
	v_add_f64 v[17:18], v[9:10], v[17:18]
	v_mul_f64 v[9:10], v[11:12], -v[3:4]
	v_mul_f64 v[11:12], v[1:2], v[11:12]
	v_fma_f64 v[9:10], v[1:2], v[17:18], v[9:10]
	v_fma_f64 v[11:12], v[3:4], v[17:18], v[11:12]
	v_add_nc_u32_e32 v17, s6, v13
	v_ashrrev_i32_e32 v18, 31, v17
	s_and_saveexec_b32 s3, s23
	s_xor_b32 s3, exec_lo, s3
	s_cbranch_execz .LBB92_22
; %bb.21:                               ;   in Loop: Header=BB92_8 Depth=1
	v_lshlrev_b64 v[17:18], 4, v[17:18]
	v_add_co_u32 v17, vcc_lo, s8, v17
	v_add_co_ci_u32_e64 v18, null, s9, v18, vcc_lo
	global_store_dwordx4 v[17:18], v[9:12], off
                                        ; implicit-def: $vgpr17
                                        ; implicit-def: $vgpr9_vgpr10
.LBB92_22:                              ;   in Loop: Header=BB92_8 Depth=1
	s_andn2_saveexec_b32 s3, s3
	s_cbranch_execz .LBB92_7
; %bb.23:                               ;   in Loop: Header=BB92_8 Depth=1
	v_lshlrev_b64 v[17:18], 4, v[17:18]
	v_add_co_u32 v21, vcc_lo, s8, v17
	v_add_co_ci_u32_e64 v22, null, s9, v18, vcc_lo
	global_load_dwordx4 v[17:20], v[21:22], off
	s_waitcnt vmcnt(0)
	v_fma_f64 v[9:10], v[5:6], v[17:18], v[9:10]
	v_fma_f64 v[11:12], v[7:8], v[17:18], v[11:12]
	v_fma_f64 v[9:10], -v[7:8], v[19:20], v[9:10]
	v_fma_f64 v[11:12], v[5:6], v[19:20], v[11:12]
	global_store_dwordx4 v[21:22], v[9:12], off
	s_branch .LBB92_7
.LBB92_24:
	s_endpgm
	.section	.rodata,"a",@progbits
	.p2align	6, 0x0
	.amdhsa_kernel _ZN9rocsparseL22bsrxmvn_general_kernelILj1024ELj32E21rocsparse_complex_numIdEiidS2_S2_EEv20rocsparse_direction_NS_24const_host_device_scalarIT1_EET3_PKS7_PKT2_SC_S9_PKT4_S7_PKT5_S6_PT6_21rocsparse_index_base_b
		.amdhsa_group_segment_fixed_size 0
		.amdhsa_private_segment_fixed_size 0
		.amdhsa_kernarg_size 120
		.amdhsa_user_sgpr_count 6
		.amdhsa_user_sgpr_private_segment_buffer 1
		.amdhsa_user_sgpr_dispatch_ptr 0
		.amdhsa_user_sgpr_queue_ptr 0
		.amdhsa_user_sgpr_kernarg_segment_ptr 1
		.amdhsa_user_sgpr_dispatch_id 0
		.amdhsa_user_sgpr_flat_scratch_init 0
		.amdhsa_user_sgpr_private_segment_size 0
		.amdhsa_wavefront_size32 1
		.amdhsa_uses_dynamic_stack 0
		.amdhsa_system_sgpr_private_segment_wavefront_offset 0
		.amdhsa_system_sgpr_workgroup_id_x 1
		.amdhsa_system_sgpr_workgroup_id_y 0
		.amdhsa_system_sgpr_workgroup_id_z 0
		.amdhsa_system_sgpr_workgroup_info 0
		.amdhsa_system_vgpr_workitem_id 0
		.amdhsa_next_free_vgpr 36
		.amdhsa_next_free_sgpr 30
		.amdhsa_reserve_vcc 1
		.amdhsa_reserve_flat_scratch 0
		.amdhsa_float_round_mode_32 0
		.amdhsa_float_round_mode_16_64 0
		.amdhsa_float_denorm_mode_32 3
		.amdhsa_float_denorm_mode_16_64 3
		.amdhsa_dx10_clamp 1
		.amdhsa_ieee_mode 1
		.amdhsa_fp16_overflow 0
		.amdhsa_workgroup_processor_mode 1
		.amdhsa_memory_ordered 1
		.amdhsa_forward_progress 1
		.amdhsa_shared_vgpr_count 0
		.amdhsa_exception_fp_ieee_invalid_op 0
		.amdhsa_exception_fp_denorm_src 0
		.amdhsa_exception_fp_ieee_div_zero 0
		.amdhsa_exception_fp_ieee_overflow 0
		.amdhsa_exception_fp_ieee_underflow 0
		.amdhsa_exception_fp_ieee_inexact 0
		.amdhsa_exception_int_div_zero 0
	.end_amdhsa_kernel
	.section	.text._ZN9rocsparseL22bsrxmvn_general_kernelILj1024ELj32E21rocsparse_complex_numIdEiidS2_S2_EEv20rocsparse_direction_NS_24const_host_device_scalarIT1_EET3_PKS7_PKT2_SC_S9_PKT4_S7_PKT5_S6_PT6_21rocsparse_index_base_b,"axG",@progbits,_ZN9rocsparseL22bsrxmvn_general_kernelILj1024ELj32E21rocsparse_complex_numIdEiidS2_S2_EEv20rocsparse_direction_NS_24const_host_device_scalarIT1_EET3_PKS7_PKT2_SC_S9_PKT4_S7_PKT5_S6_PT6_21rocsparse_index_base_b,comdat
.Lfunc_end92:
	.size	_ZN9rocsparseL22bsrxmvn_general_kernelILj1024ELj32E21rocsparse_complex_numIdEiidS2_S2_EEv20rocsparse_direction_NS_24const_host_device_scalarIT1_EET3_PKS7_PKT2_SC_S9_PKT4_S7_PKT5_S6_PT6_21rocsparse_index_base_b, .Lfunc_end92-_ZN9rocsparseL22bsrxmvn_general_kernelILj1024ELj32E21rocsparse_complex_numIdEiidS2_S2_EEv20rocsparse_direction_NS_24const_host_device_scalarIT1_EET3_PKS7_PKT2_SC_S9_PKT4_S7_PKT5_S6_PT6_21rocsparse_index_base_b
                                        ; -- End function
	.set _ZN9rocsparseL22bsrxmvn_general_kernelILj1024ELj32E21rocsparse_complex_numIdEiidS2_S2_EEv20rocsparse_direction_NS_24const_host_device_scalarIT1_EET3_PKS7_PKT2_SC_S9_PKT4_S7_PKT5_S6_PT6_21rocsparse_index_base_b.num_vgpr, 36
	.set _ZN9rocsparseL22bsrxmvn_general_kernelILj1024ELj32E21rocsparse_complex_numIdEiidS2_S2_EEv20rocsparse_direction_NS_24const_host_device_scalarIT1_EET3_PKS7_PKT2_SC_S9_PKT4_S7_PKT5_S6_PT6_21rocsparse_index_base_b.num_agpr, 0
	.set _ZN9rocsparseL22bsrxmvn_general_kernelILj1024ELj32E21rocsparse_complex_numIdEiidS2_S2_EEv20rocsparse_direction_NS_24const_host_device_scalarIT1_EET3_PKS7_PKT2_SC_S9_PKT4_S7_PKT5_S6_PT6_21rocsparse_index_base_b.numbered_sgpr, 30
	.set _ZN9rocsparseL22bsrxmvn_general_kernelILj1024ELj32E21rocsparse_complex_numIdEiidS2_S2_EEv20rocsparse_direction_NS_24const_host_device_scalarIT1_EET3_PKS7_PKT2_SC_S9_PKT4_S7_PKT5_S6_PT6_21rocsparse_index_base_b.num_named_barrier, 0
	.set _ZN9rocsparseL22bsrxmvn_general_kernelILj1024ELj32E21rocsparse_complex_numIdEiidS2_S2_EEv20rocsparse_direction_NS_24const_host_device_scalarIT1_EET3_PKS7_PKT2_SC_S9_PKT4_S7_PKT5_S6_PT6_21rocsparse_index_base_b.private_seg_size, 0
	.set _ZN9rocsparseL22bsrxmvn_general_kernelILj1024ELj32E21rocsparse_complex_numIdEiidS2_S2_EEv20rocsparse_direction_NS_24const_host_device_scalarIT1_EET3_PKS7_PKT2_SC_S9_PKT4_S7_PKT5_S6_PT6_21rocsparse_index_base_b.uses_vcc, 1
	.set _ZN9rocsparseL22bsrxmvn_general_kernelILj1024ELj32E21rocsparse_complex_numIdEiidS2_S2_EEv20rocsparse_direction_NS_24const_host_device_scalarIT1_EET3_PKS7_PKT2_SC_S9_PKT4_S7_PKT5_S6_PT6_21rocsparse_index_base_b.uses_flat_scratch, 0
	.set _ZN9rocsparseL22bsrxmvn_general_kernelILj1024ELj32E21rocsparse_complex_numIdEiidS2_S2_EEv20rocsparse_direction_NS_24const_host_device_scalarIT1_EET3_PKS7_PKT2_SC_S9_PKT4_S7_PKT5_S6_PT6_21rocsparse_index_base_b.has_dyn_sized_stack, 0
	.set _ZN9rocsparseL22bsrxmvn_general_kernelILj1024ELj32E21rocsparse_complex_numIdEiidS2_S2_EEv20rocsparse_direction_NS_24const_host_device_scalarIT1_EET3_PKS7_PKT2_SC_S9_PKT4_S7_PKT5_S6_PT6_21rocsparse_index_base_b.has_recursion, 0
	.set _ZN9rocsparseL22bsrxmvn_general_kernelILj1024ELj32E21rocsparse_complex_numIdEiidS2_S2_EEv20rocsparse_direction_NS_24const_host_device_scalarIT1_EET3_PKS7_PKT2_SC_S9_PKT4_S7_PKT5_S6_PT6_21rocsparse_index_base_b.has_indirect_call, 0
	.section	.AMDGPU.csdata,"",@progbits
; Kernel info:
; codeLenInByte = 1540
; TotalNumSgprs: 32
; NumVgprs: 36
; ScratchSize: 0
; MemoryBound: 0
; FloatMode: 240
; IeeeMode: 1
; LDSByteSize: 0 bytes/workgroup (compile time only)
; SGPRBlocks: 0
; VGPRBlocks: 4
; NumSGPRsForWavesPerEU: 32
; NumVGPRsForWavesPerEU: 36
; Occupancy: 16
; WaveLimiterHint : 1
; COMPUTE_PGM_RSRC2:SCRATCH_EN: 0
; COMPUTE_PGM_RSRC2:USER_SGPR: 6
; COMPUTE_PGM_RSRC2:TRAP_HANDLER: 0
; COMPUTE_PGM_RSRC2:TGID_X_EN: 1
; COMPUTE_PGM_RSRC2:TGID_Y_EN: 0
; COMPUTE_PGM_RSRC2:TGID_Z_EN: 0
; COMPUTE_PGM_RSRC2:TIDIG_COMP_CNT: 0
	.section	.text._ZN9rocsparseL22bsrxmvn_general_kernelILj64ELj8E21rocsparse_complex_numIdElidS2_S2_EEv20rocsparse_direction_NS_24const_host_device_scalarIT1_EET3_PKS7_PKT2_SC_S9_PKT4_S7_PKT5_S6_PT6_21rocsparse_index_base_b,"axG",@progbits,_ZN9rocsparseL22bsrxmvn_general_kernelILj64ELj8E21rocsparse_complex_numIdElidS2_S2_EEv20rocsparse_direction_NS_24const_host_device_scalarIT1_EET3_PKS7_PKT2_SC_S9_PKT4_S7_PKT5_S6_PT6_21rocsparse_index_base_b,comdat
	.globl	_ZN9rocsparseL22bsrxmvn_general_kernelILj64ELj8E21rocsparse_complex_numIdElidS2_S2_EEv20rocsparse_direction_NS_24const_host_device_scalarIT1_EET3_PKS7_PKT2_SC_S9_PKT4_S7_PKT5_S6_PT6_21rocsparse_index_base_b ; -- Begin function _ZN9rocsparseL22bsrxmvn_general_kernelILj64ELj8E21rocsparse_complex_numIdElidS2_S2_EEv20rocsparse_direction_NS_24const_host_device_scalarIT1_EET3_PKS7_PKT2_SC_S9_PKT4_S7_PKT5_S6_PT6_21rocsparse_index_base_b
	.p2align	8
	.type	_ZN9rocsparseL22bsrxmvn_general_kernelILj64ELj8E21rocsparse_complex_numIdElidS2_S2_EEv20rocsparse_direction_NS_24const_host_device_scalarIT1_EET3_PKS7_PKT2_SC_S9_PKT4_S7_PKT5_S6_PT6_21rocsparse_index_base_b,@function
_ZN9rocsparseL22bsrxmvn_general_kernelILj64ELj8E21rocsparse_complex_numIdElidS2_S2_EEv20rocsparse_direction_NS_24const_host_device_scalarIT1_EET3_PKS7_PKT2_SC_S9_PKT4_S7_PKT5_S6_PT6_21rocsparse_index_base_b: ; @_ZN9rocsparseL22bsrxmvn_general_kernelILj64ELj8E21rocsparse_complex_numIdElidS2_S2_EEv20rocsparse_direction_NS_24const_host_device_scalarIT1_EET3_PKS7_PKT2_SC_S9_PKT4_S7_PKT5_S6_PT6_21rocsparse_index_base_b
; %bb.0:
	s_clause 0x1
	s_load_dwordx2 s[16:17], s[4:5], 0x70
	s_load_dwordx2 s[0:1], s[4:5], 0x8
	s_add_u32 s7, s4, 8
	s_addc_u32 s8, s5, 0
	s_add_u32 s9, s4, 0x58
	s_addc_u32 s10, s5, 0
	s_load_dwordx2 s[2:3], s[4:5], 0x58
	s_waitcnt lgkmcnt(0)
	s_bitcmp1_b32 s17, 0
	s_cselect_b32 s0, s7, s0
	s_cselect_b32 s1, s8, s1
	v_mov_b32_e32 v1, s0
	v_mov_b32_e32 v2, s1
	s_cselect_b32 s0, s9, s2
	s_cselect_b32 s1, s10, s3
	v_mov_b32_e32 v5, s0
	v_mov_b32_e32 v6, s1
	flat_load_dwordx4 v[1:4], v[1:2]
	flat_load_dwordx4 v[5:8], v[5:6]
	s_waitcnt vmcnt(1) lgkmcnt(1)
	v_cmp_eq_f64_e32 vcc_lo, 0, v[1:2]
	v_cmp_eq_f64_e64 s0, 0, v[3:4]
	s_and_b32 s2, vcc_lo, s0
	s_mov_b32 s0, -1
	s_and_saveexec_b32 s1, s2
	s_cbranch_execz .LBB93_2
; %bb.1:
	s_waitcnt vmcnt(0) lgkmcnt(0)
	v_cmp_neq_f64_e32 vcc_lo, 1.0, v[5:6]
	v_cmp_neq_f64_e64 s0, 0, v[7:8]
	s_or_b32 s0, vcc_lo, s0
	s_orn2_b32 s0, s0, exec_lo
.LBB93_2:
	s_or_b32 exec_lo, exec_lo, s1
	s_and_saveexec_b32 s1, s0
	s_cbranch_execz .LBB93_24
; %bb.3:
	s_load_dwordx2 s[0:1], s[4:5], 0x20
	s_waitcnt lgkmcnt(0)
	s_cmp_eq_u64 s[0:1], 0
	s_cbranch_scc1 .LBB93_5
; %bb.4:
	s_ashr_i32 s7, s6, 31
	s_lshl_b64 s[2:3], s[6:7], 2
	s_add_u32 s0, s0, s2
	s_addc_u32 s1, s1, s3
	s_load_dword s0, s[0:1], 0x0
	s_waitcnt lgkmcnt(0)
	s_sub_i32 s6, s0, s16
.LBB93_5:
	s_load_dword s17, s[4:5], 0x48
	v_lshrrev_b32_e32 v13, 3, v0
	s_waitcnt lgkmcnt(0)
	v_cmp_gt_i32_e32 vcc_lo, s17, v13
	s_and_b32 exec_lo, exec_lo, vcc_lo
	s_cbranch_execz .LBB93_24
; %bb.6:
	s_load_dwordx8 s[8:15], s[4:5], 0x28
	s_ashr_i32 s7, s6, 31
	s_load_dword s3, s[4:5], 0x0
	s_lshl_b64 s[0:1], s[6:7], 3
	s_mul_i32 s23, s6, s17
	v_mbcnt_lo_u32_b32 v9, -1, 0
	s_waitcnt vmcnt(0)
	v_cmp_eq_f64_e32 vcc_lo, 0, v[5:6]
	v_cmp_eq_f64_e64 s2, 0, v[7:8]
	v_and_b32_e32 v15, 7, v0
	s_mul_hi_u32 s21, s17, s17
	v_xor_b32_e32 v10, 4, v9
	v_xor_b32_e32 v11, 2, v9
	;; [unrolled: 1-line block ×3, first 2 shown]
	s_mul_i32 s22, s17, s17
	v_mul_lo_u32 v0, s17, v13
	v_mul_lo_u32 v23, s17, v15
	v_mov_b32_e32 v16, 0
	s_mov_b32 s20, 0
	s_waitcnt lgkmcnt(0)
	s_add_u32 s24, s8, s0
	s_addc_u32 s25, s9, s1
	s_load_dwordx2 s[26:27], s[24:25], 0x0
	s_clause 0x1
	s_load_dwordx2 s[8:9], s[4:5], 0x68
	s_load_dwordx2 s[18:19], s[4:5], 0x50
	s_waitcnt lgkmcnt(0)
	s_sub_u32 s4, s26, s16
	s_subb_u32 s5, s27, 0
	s_add_u32 s6, s24, 8
	s_addc_u32 s7, s25, 0
	s_add_u32 s0, s10, s0
	s_addc_u32 s1, s11, s1
	s_cmp_eq_u64 s[10:11], 0
	s_mul_i32 s28, s4, s21
	s_cselect_b32 s1, s7, s1
	s_cselect_b32 s0, s6, s0
	s_mul_hi_u32 s29, s4, s22
	s_load_dwordx2 s[24:25], s[0:1], 0x0
	v_cmp_gt_i32_e64 s1, 32, v10
	v_cmp_gt_u32_e64 s0, s17, v15
	s_mul_i32 s30, s5, s22
	s_mul_i32 s10, s4, s22
	v_cndmask_b32_e64 v10, v9, v10, s1
	v_cmp_gt_i32_e64 s1, 32, v11
	v_lshlrev_b32_e32 v24, 2, v10
	v_cndmask_b32_e64 v11, v9, v11, s1
	v_cmp_gt_i32_e64 s1, 32, v12
	v_lshlrev_b32_e32 v25, 2, v11
	v_cndmask_b32_e64 v9, v9, v12, s1
	v_cmp_eq_u32_e64 s1, 7, v15
	s_waitcnt lgkmcnt(0)
	s_sub_u32 s6, s24, s16
	s_subb_u32 s7, s25, 0
	s_cmp_lg_u32 s3, 0
	v_cmp_lt_i64_e64 s11, s[26:27], s[24:25]
	v_lshlrev_b32_e32 v26, 2, v9
	s_cselect_b32 s24, -1, 0
	s_add_i32 s3, s29, s28
	s_and_b32 s25, vcc_lo, s2
	s_add_i32 s26, s3, s30
	s_lshl_b32 s27, s17, 3
	s_branch .LBB93_8
.LBB93_7:                               ;   in Loop: Header=BB93_8 Depth=1
	s_or_b32 exec_lo, exec_lo, s2
	v_add_nc_u32_e32 v13, 8, v13
	v_add_nc_u32_e32 v0, s27, v0
	v_cmp_le_i32_e32 vcc_lo, s17, v13
	s_or_b32 s20, vcc_lo, s20
	s_andn2_b32 exec_lo, exec_lo, s20
	s_cbranch_execz .LBB93_24
.LBB93_8:                               ; =>This Loop Header: Depth=1
                                        ;     Child Loop BB93_12 Depth 2
                                        ;       Child Loop BB93_15 Depth 3
	v_mov_b32_e32 v9, 0
	v_mov_b32_e32 v11, 0
	;; [unrolled: 1-line block ×4, first 2 shown]
	s_andn2_b32 vcc_lo, exec_lo, s11
	s_cbranch_vccnz .LBB93_19
; %bb.9:                                ;   in Loop: Header=BB93_8 Depth=1
	v_ashrrev_i32_e32 v11, 31, v0
	v_add_co_u32 v27, vcc_lo, s10, v0
	v_mov_b32_e32 v9, 0
	v_mov_b32_e32 v10, 0
	v_add_co_ci_u32_e64 v28, null, s26, v11, vcc_lo
	v_mov_b32_e32 v11, 0
	v_mov_b32_e32 v12, 0
	v_ashrrev_i32_e32 v14, 31, v13
	s_mov_b64 s[2:3], s[4:5]
	s_branch .LBB93_12
.LBB93_10:                              ;   in Loop: Header=BB93_12 Depth=2
	s_or_b32 exec_lo, exec_lo, s29
.LBB93_11:                              ;   in Loop: Header=BB93_12 Depth=2
	s_or_b32 exec_lo, exec_lo, s28
	s_add_u32 s2, s2, 1
	s_addc_u32 s3, s3, 0
	v_add_co_u32 v27, vcc_lo, v27, s22
	v_cmp_ge_i64_e64 s28, s[2:3], s[6:7]
	v_add_co_ci_u32_e64 v28, null, s21, v28, vcc_lo
	s_and_b32 vcc_lo, exec_lo, s28
	s_cbranch_vccnz .LBB93_19
.LBB93_12:                              ;   Parent Loop BB93_8 Depth=1
                                        ; =>  This Loop Header: Depth=2
                                        ;       Child Loop BB93_15 Depth 3
	s_and_saveexec_b32 s28, s0
	s_cbranch_execz .LBB93_11
; %bb.13:                               ;   in Loop: Header=BB93_12 Depth=2
	s_lshl_b64 s[30:31], s[2:3], 2
	s_waitcnt lgkmcnt(2)
	v_mad_u64_u32 v[17:18], null, s22, s2, v[13:14]
	s_add_u32 s30, s12, s30
	s_addc_u32 s31, s13, s31
	s_waitcnt lgkmcnt(0)
	v_mov_b32_e32 v20, v16
	s_load_dword s29, s[30:31], 0x0
	s_mul_i32 s30, s21, s2
	s_mul_i32 s31, s22, s3
	v_mov_b32_e32 v29, v23
	v_mov_b32_e32 v19, v15
	v_add3_u32 v18, s31, s30, v18
	s_waitcnt lgkmcnt(0)
	s_sub_i32 s29, s29, s16
	s_mul_i32 s30, s29, s17
	s_mov_b32 s29, 0
	s_branch .LBB93_15
.LBB93_14:                              ;   in Loop: Header=BB93_15 Depth=3
	v_add_nc_u32_e32 v30, s30, v19
	v_lshlrev_b64 v[21:22], 3, v[21:22]
	v_add_nc_u32_e32 v29, s27, v29
	v_ashrrev_i32_e32 v31, 31, v30
	v_add_co_u32 v21, vcc_lo, s14, v21
	v_add_co_ci_u32_e64 v22, null, s15, v22, vcc_lo
	v_lshlrev_b64 v[30:31], 4, v[30:31]
	v_add_co_u32 v30, vcc_lo, s18, v30
	v_add_co_ci_u32_e64 v31, null, s19, v31, vcc_lo
	v_add_co_u32 v19, vcc_lo, v19, 8
	global_load_dwordx2 v[21:22], v[21:22], off
	global_load_dwordx4 v[30:33], v[30:31], off
	v_add_co_ci_u32_e64 v20, null, 0, v20, vcc_lo
	v_cmp_le_i32_e32 vcc_lo, s17, v19
	s_or_b32 s29, vcc_lo, s29
	s_waitcnt vmcnt(0)
	v_fma_f64 v[11:12], v[21:22], v[30:31], v[11:12]
	v_fma_f64 v[9:10], v[30:31], 0, v[9:10]
	;; [unrolled: 1-line block ×4, first 2 shown]
	s_andn2_b32 exec_lo, exec_lo, s29
	s_cbranch_execz .LBB93_10
.LBB93_15:                              ;   Parent Loop BB93_8 Depth=1
                                        ;     Parent Loop BB93_12 Depth=2
                                        ; =>    This Inner Loop Header: Depth=3
	s_and_b32 vcc_lo, exec_lo, s24
	s_cbranch_vccz .LBB93_17
; %bb.16:                               ;   in Loop: Header=BB93_15 Depth=3
	v_ashrrev_i32_e32 v22, 31, v29
	v_add_co_u32 v21, vcc_lo, v17, v29
	v_add_co_ci_u32_e64 v22, null, v18, v22, vcc_lo
	s_cbranch_execnz .LBB93_14
	s_branch .LBB93_18
.LBB93_17:                              ;   in Loop: Header=BB93_15 Depth=3
                                        ; implicit-def: $vgpr21_vgpr22
.LBB93_18:                              ;   in Loop: Header=BB93_15 Depth=3
	v_add_co_u32 v21, vcc_lo, v27, v19
	v_add_co_ci_u32_e64 v22, null, v28, v20, vcc_lo
	s_branch .LBB93_14
.LBB93_19:                              ;   in Loop: Header=BB93_8 Depth=1
	s_waitcnt lgkmcnt(3)
	ds_bpermute_b32 v17, v24, v11
	s_waitcnt lgkmcnt(3)
	ds_bpermute_b32 v18, v24, v12
	;; [unrolled: 2-line block ×4, first 2 shown]
	s_waitcnt lgkmcnt(2)
	v_add_f64 v[11:12], v[11:12], v[17:18]
	s_waitcnt lgkmcnt(0)
	v_add_f64 v[17:18], v[9:10], v[19:20]
	ds_bpermute_b32 v9, v25, v11
	ds_bpermute_b32 v10, v25, v12
	;; [unrolled: 1-line block ×4, first 2 shown]
	s_waitcnt lgkmcnt(2)
	v_add_f64 v[9:10], v[11:12], v[9:10]
	s_waitcnt lgkmcnt(0)
	v_add_f64 v[11:12], v[17:18], v[19:20]
	ds_bpermute_b32 v17, v26, v9
	ds_bpermute_b32 v18, v26, v10
	;; [unrolled: 1-line block ×4, first 2 shown]
	s_and_saveexec_b32 s2, s1
	s_cbranch_execz .LBB93_7
; %bb.20:                               ;   in Loop: Header=BB93_8 Depth=1
	s_waitcnt lgkmcnt(0)
	v_add_f64 v[11:12], v[11:12], v[19:20]
	v_add_f64 v[17:18], v[9:10], v[17:18]
	v_mul_f64 v[9:10], v[11:12], -v[3:4]
	v_mul_f64 v[11:12], v[1:2], v[11:12]
	v_fma_f64 v[9:10], v[1:2], v[17:18], v[9:10]
	v_fma_f64 v[11:12], v[3:4], v[17:18], v[11:12]
	v_add_nc_u32_e32 v17, s23, v13
	v_ashrrev_i32_e32 v18, 31, v17
	s_and_saveexec_b32 s3, s25
	s_xor_b32 s3, exec_lo, s3
	s_cbranch_execz .LBB93_22
; %bb.21:                               ;   in Loop: Header=BB93_8 Depth=1
	v_lshlrev_b64 v[17:18], 4, v[17:18]
	v_add_co_u32 v17, vcc_lo, s8, v17
	v_add_co_ci_u32_e64 v18, null, s9, v18, vcc_lo
	global_store_dwordx4 v[17:18], v[9:12], off
                                        ; implicit-def: $vgpr17
                                        ; implicit-def: $vgpr9_vgpr10
.LBB93_22:                              ;   in Loop: Header=BB93_8 Depth=1
	s_andn2_saveexec_b32 s3, s3
	s_cbranch_execz .LBB93_7
; %bb.23:                               ;   in Loop: Header=BB93_8 Depth=1
	v_lshlrev_b64 v[17:18], 4, v[17:18]
	v_add_co_u32 v21, vcc_lo, s8, v17
	v_add_co_ci_u32_e64 v22, null, s9, v18, vcc_lo
	global_load_dwordx4 v[17:20], v[21:22], off
	s_waitcnt vmcnt(0)
	v_fma_f64 v[9:10], v[5:6], v[17:18], v[9:10]
	v_fma_f64 v[11:12], v[7:8], v[17:18], v[11:12]
	v_fma_f64 v[9:10], -v[7:8], v[19:20], v[9:10]
	v_fma_f64 v[11:12], v[5:6], v[19:20], v[11:12]
	global_store_dwordx4 v[21:22], v[9:12], off
	s_branch .LBB93_7
.LBB93_24:
	s_endpgm
	.section	.rodata,"a",@progbits
	.p2align	6, 0x0
	.amdhsa_kernel _ZN9rocsparseL22bsrxmvn_general_kernelILj64ELj8E21rocsparse_complex_numIdElidS2_S2_EEv20rocsparse_direction_NS_24const_host_device_scalarIT1_EET3_PKS7_PKT2_SC_S9_PKT4_S7_PKT5_S6_PT6_21rocsparse_index_base_b
		.amdhsa_group_segment_fixed_size 0
		.amdhsa_private_segment_fixed_size 0
		.amdhsa_kernarg_size 120
		.amdhsa_user_sgpr_count 6
		.amdhsa_user_sgpr_private_segment_buffer 1
		.amdhsa_user_sgpr_dispatch_ptr 0
		.amdhsa_user_sgpr_queue_ptr 0
		.amdhsa_user_sgpr_kernarg_segment_ptr 1
		.amdhsa_user_sgpr_dispatch_id 0
		.amdhsa_user_sgpr_flat_scratch_init 0
		.amdhsa_user_sgpr_private_segment_size 0
		.amdhsa_wavefront_size32 1
		.amdhsa_uses_dynamic_stack 0
		.amdhsa_system_sgpr_private_segment_wavefront_offset 0
		.amdhsa_system_sgpr_workgroup_id_x 1
		.amdhsa_system_sgpr_workgroup_id_y 0
		.amdhsa_system_sgpr_workgroup_id_z 0
		.amdhsa_system_sgpr_workgroup_info 0
		.amdhsa_system_vgpr_workitem_id 0
		.amdhsa_next_free_vgpr 34
		.amdhsa_next_free_sgpr 32
		.amdhsa_reserve_vcc 1
		.amdhsa_reserve_flat_scratch 0
		.amdhsa_float_round_mode_32 0
		.amdhsa_float_round_mode_16_64 0
		.amdhsa_float_denorm_mode_32 3
		.amdhsa_float_denorm_mode_16_64 3
		.amdhsa_dx10_clamp 1
		.amdhsa_ieee_mode 1
		.amdhsa_fp16_overflow 0
		.amdhsa_workgroup_processor_mode 1
		.amdhsa_memory_ordered 1
		.amdhsa_forward_progress 1
		.amdhsa_shared_vgpr_count 0
		.amdhsa_exception_fp_ieee_invalid_op 0
		.amdhsa_exception_fp_denorm_src 0
		.amdhsa_exception_fp_ieee_div_zero 0
		.amdhsa_exception_fp_ieee_overflow 0
		.amdhsa_exception_fp_ieee_underflow 0
		.amdhsa_exception_fp_ieee_inexact 0
		.amdhsa_exception_int_div_zero 0
	.end_amdhsa_kernel
	.section	.text._ZN9rocsparseL22bsrxmvn_general_kernelILj64ELj8E21rocsparse_complex_numIdElidS2_S2_EEv20rocsparse_direction_NS_24const_host_device_scalarIT1_EET3_PKS7_PKT2_SC_S9_PKT4_S7_PKT5_S6_PT6_21rocsparse_index_base_b,"axG",@progbits,_ZN9rocsparseL22bsrxmvn_general_kernelILj64ELj8E21rocsparse_complex_numIdElidS2_S2_EEv20rocsparse_direction_NS_24const_host_device_scalarIT1_EET3_PKS7_PKT2_SC_S9_PKT4_S7_PKT5_S6_PT6_21rocsparse_index_base_b,comdat
.Lfunc_end93:
	.size	_ZN9rocsparseL22bsrxmvn_general_kernelILj64ELj8E21rocsparse_complex_numIdElidS2_S2_EEv20rocsparse_direction_NS_24const_host_device_scalarIT1_EET3_PKS7_PKT2_SC_S9_PKT4_S7_PKT5_S6_PT6_21rocsparse_index_base_b, .Lfunc_end93-_ZN9rocsparseL22bsrxmvn_general_kernelILj64ELj8E21rocsparse_complex_numIdElidS2_S2_EEv20rocsparse_direction_NS_24const_host_device_scalarIT1_EET3_PKS7_PKT2_SC_S9_PKT4_S7_PKT5_S6_PT6_21rocsparse_index_base_b
                                        ; -- End function
	.set _ZN9rocsparseL22bsrxmvn_general_kernelILj64ELj8E21rocsparse_complex_numIdElidS2_S2_EEv20rocsparse_direction_NS_24const_host_device_scalarIT1_EET3_PKS7_PKT2_SC_S9_PKT4_S7_PKT5_S6_PT6_21rocsparse_index_base_b.num_vgpr, 34
	.set _ZN9rocsparseL22bsrxmvn_general_kernelILj64ELj8E21rocsparse_complex_numIdElidS2_S2_EEv20rocsparse_direction_NS_24const_host_device_scalarIT1_EET3_PKS7_PKT2_SC_S9_PKT4_S7_PKT5_S6_PT6_21rocsparse_index_base_b.num_agpr, 0
	.set _ZN9rocsparseL22bsrxmvn_general_kernelILj64ELj8E21rocsparse_complex_numIdElidS2_S2_EEv20rocsparse_direction_NS_24const_host_device_scalarIT1_EET3_PKS7_PKT2_SC_S9_PKT4_S7_PKT5_S6_PT6_21rocsparse_index_base_b.numbered_sgpr, 32
	.set _ZN9rocsparseL22bsrxmvn_general_kernelILj64ELj8E21rocsparse_complex_numIdElidS2_S2_EEv20rocsparse_direction_NS_24const_host_device_scalarIT1_EET3_PKS7_PKT2_SC_S9_PKT4_S7_PKT5_S6_PT6_21rocsparse_index_base_b.num_named_barrier, 0
	.set _ZN9rocsparseL22bsrxmvn_general_kernelILj64ELj8E21rocsparse_complex_numIdElidS2_S2_EEv20rocsparse_direction_NS_24const_host_device_scalarIT1_EET3_PKS7_PKT2_SC_S9_PKT4_S7_PKT5_S6_PT6_21rocsparse_index_base_b.private_seg_size, 0
	.set _ZN9rocsparseL22bsrxmvn_general_kernelILj64ELj8E21rocsparse_complex_numIdElidS2_S2_EEv20rocsparse_direction_NS_24const_host_device_scalarIT1_EET3_PKS7_PKT2_SC_S9_PKT4_S7_PKT5_S6_PT6_21rocsparse_index_base_b.uses_vcc, 1
	.set _ZN9rocsparseL22bsrxmvn_general_kernelILj64ELj8E21rocsparse_complex_numIdElidS2_S2_EEv20rocsparse_direction_NS_24const_host_device_scalarIT1_EET3_PKS7_PKT2_SC_S9_PKT4_S7_PKT5_S6_PT6_21rocsparse_index_base_b.uses_flat_scratch, 0
	.set _ZN9rocsparseL22bsrxmvn_general_kernelILj64ELj8E21rocsparse_complex_numIdElidS2_S2_EEv20rocsparse_direction_NS_24const_host_device_scalarIT1_EET3_PKS7_PKT2_SC_S9_PKT4_S7_PKT5_S6_PT6_21rocsparse_index_base_b.has_dyn_sized_stack, 0
	.set _ZN9rocsparseL22bsrxmvn_general_kernelILj64ELj8E21rocsparse_complex_numIdElidS2_S2_EEv20rocsparse_direction_NS_24const_host_device_scalarIT1_EET3_PKS7_PKT2_SC_S9_PKT4_S7_PKT5_S6_PT6_21rocsparse_index_base_b.has_recursion, 0
	.set _ZN9rocsparseL22bsrxmvn_general_kernelILj64ELj8E21rocsparse_complex_numIdElidS2_S2_EEv20rocsparse_direction_NS_24const_host_device_scalarIT1_EET3_PKS7_PKT2_SC_S9_PKT4_S7_PKT5_S6_PT6_21rocsparse_index_base_b.has_indirect_call, 0
	.section	.AMDGPU.csdata,"",@progbits
; Kernel info:
; codeLenInByte = 1388
; TotalNumSgprs: 34
; NumVgprs: 34
; ScratchSize: 0
; MemoryBound: 0
; FloatMode: 240
; IeeeMode: 1
; LDSByteSize: 0 bytes/workgroup (compile time only)
; SGPRBlocks: 0
; VGPRBlocks: 4
; NumSGPRsForWavesPerEU: 34
; NumVGPRsForWavesPerEU: 34
; Occupancy: 16
; WaveLimiterHint : 1
; COMPUTE_PGM_RSRC2:SCRATCH_EN: 0
; COMPUTE_PGM_RSRC2:USER_SGPR: 6
; COMPUTE_PGM_RSRC2:TRAP_HANDLER: 0
; COMPUTE_PGM_RSRC2:TGID_X_EN: 1
; COMPUTE_PGM_RSRC2:TGID_Y_EN: 0
; COMPUTE_PGM_RSRC2:TGID_Z_EN: 0
; COMPUTE_PGM_RSRC2:TIDIG_COMP_CNT: 0
	.section	.text._ZN9rocsparseL22bsrxmvn_general_kernelILj256ELj16E21rocsparse_complex_numIdElidS2_S2_EEv20rocsparse_direction_NS_24const_host_device_scalarIT1_EET3_PKS7_PKT2_SC_S9_PKT4_S7_PKT5_S6_PT6_21rocsparse_index_base_b,"axG",@progbits,_ZN9rocsparseL22bsrxmvn_general_kernelILj256ELj16E21rocsparse_complex_numIdElidS2_S2_EEv20rocsparse_direction_NS_24const_host_device_scalarIT1_EET3_PKS7_PKT2_SC_S9_PKT4_S7_PKT5_S6_PT6_21rocsparse_index_base_b,comdat
	.globl	_ZN9rocsparseL22bsrxmvn_general_kernelILj256ELj16E21rocsparse_complex_numIdElidS2_S2_EEv20rocsparse_direction_NS_24const_host_device_scalarIT1_EET3_PKS7_PKT2_SC_S9_PKT4_S7_PKT5_S6_PT6_21rocsparse_index_base_b ; -- Begin function _ZN9rocsparseL22bsrxmvn_general_kernelILj256ELj16E21rocsparse_complex_numIdElidS2_S2_EEv20rocsparse_direction_NS_24const_host_device_scalarIT1_EET3_PKS7_PKT2_SC_S9_PKT4_S7_PKT5_S6_PT6_21rocsparse_index_base_b
	.p2align	8
	.type	_ZN9rocsparseL22bsrxmvn_general_kernelILj256ELj16E21rocsparse_complex_numIdElidS2_S2_EEv20rocsparse_direction_NS_24const_host_device_scalarIT1_EET3_PKS7_PKT2_SC_S9_PKT4_S7_PKT5_S6_PT6_21rocsparse_index_base_b,@function
_ZN9rocsparseL22bsrxmvn_general_kernelILj256ELj16E21rocsparse_complex_numIdElidS2_S2_EEv20rocsparse_direction_NS_24const_host_device_scalarIT1_EET3_PKS7_PKT2_SC_S9_PKT4_S7_PKT5_S6_PT6_21rocsparse_index_base_b: ; @_ZN9rocsparseL22bsrxmvn_general_kernelILj256ELj16E21rocsparse_complex_numIdElidS2_S2_EEv20rocsparse_direction_NS_24const_host_device_scalarIT1_EET3_PKS7_PKT2_SC_S9_PKT4_S7_PKT5_S6_PT6_21rocsparse_index_base_b
; %bb.0:
	s_clause 0x1
	s_load_dwordx2 s[16:17], s[4:5], 0x70
	s_load_dwordx2 s[0:1], s[4:5], 0x8
	s_add_u32 s7, s4, 8
	s_addc_u32 s8, s5, 0
	s_add_u32 s9, s4, 0x58
	s_addc_u32 s10, s5, 0
	s_load_dwordx2 s[2:3], s[4:5], 0x58
	s_waitcnt lgkmcnt(0)
	s_bitcmp1_b32 s17, 0
	s_cselect_b32 s0, s7, s0
	s_cselect_b32 s1, s8, s1
	v_mov_b32_e32 v1, s0
	v_mov_b32_e32 v2, s1
	s_cselect_b32 s0, s9, s2
	s_cselect_b32 s1, s10, s3
	v_mov_b32_e32 v5, s0
	v_mov_b32_e32 v6, s1
	flat_load_dwordx4 v[1:4], v[1:2]
	flat_load_dwordx4 v[5:8], v[5:6]
	s_waitcnt vmcnt(1) lgkmcnt(1)
	v_cmp_eq_f64_e32 vcc_lo, 0, v[1:2]
	v_cmp_eq_f64_e64 s0, 0, v[3:4]
	s_and_b32 s2, vcc_lo, s0
	s_mov_b32 s0, -1
	s_and_saveexec_b32 s1, s2
	s_cbranch_execz .LBB94_2
; %bb.1:
	s_waitcnt vmcnt(0) lgkmcnt(0)
	v_cmp_neq_f64_e32 vcc_lo, 1.0, v[5:6]
	v_cmp_neq_f64_e64 s0, 0, v[7:8]
	s_or_b32 s0, vcc_lo, s0
	s_orn2_b32 s0, s0, exec_lo
.LBB94_2:
	s_or_b32 exec_lo, exec_lo, s1
	s_and_saveexec_b32 s1, s0
	s_cbranch_execz .LBB94_24
; %bb.3:
	s_load_dwordx2 s[0:1], s[4:5], 0x20
	s_waitcnt lgkmcnt(0)
	s_cmp_eq_u64 s[0:1], 0
	s_cbranch_scc1 .LBB94_5
; %bb.4:
	s_ashr_i32 s7, s6, 31
	s_lshl_b64 s[2:3], s[6:7], 2
	s_add_u32 s0, s0, s2
	s_addc_u32 s1, s1, s3
	s_load_dword s0, s[0:1], 0x0
	s_waitcnt lgkmcnt(0)
	s_sub_i32 s6, s0, s16
.LBB94_5:
	s_load_dword s17, s[4:5], 0x48
	v_lshrrev_b32_e32 v13, 4, v0
	s_waitcnt lgkmcnt(0)
	v_cmp_gt_i32_e32 vcc_lo, s17, v13
	s_and_b32 exec_lo, exec_lo, vcc_lo
	s_cbranch_execz .LBB94_24
; %bb.6:
	s_load_dwordx8 s[8:15], s[4:5], 0x28
	s_ashr_i32 s7, s6, 31
	v_mbcnt_lo_u32_b32 v9, -1, 0
	s_lshl_b64 s[26:27], s[6:7], 3
	s_load_dword s30, s[4:5], 0x0
	s_mul_i32 s25, s6, s17
	s_waitcnt vmcnt(0)
	v_cmp_eq_f64_e32 vcc_lo, 0, v[5:6]
	v_xor_b32_e32 v10, 8, v9
	v_xor_b32_e32 v11, 4, v9
	;; [unrolled: 1-line block ×3, first 2 shown]
	v_cmp_eq_f64_e64 s2, 0, v[7:8]
	v_xor_b32_e32 v14, 1, v9
	v_and_b32_e32 v15, 15, v0
	s_mul_hi_u32 s23, s17, s17
	s_mul_i32 s24, s17, s17
	v_mul_lo_u32 v0, s17, v13
	v_mov_b32_e32 v16, 0
	v_mul_lo_u32 v23, s17, v15
	v_cmp_gt_u32_e64 s0, s17, v15
	s_mov_b32 s22, 0
	s_waitcnt lgkmcnt(0)
	s_add_u32 s28, s8, s26
	s_addc_u32 s29, s9, s27
	s_load_dwordx2 s[20:21], s[28:29], 0x0
	s_clause 0x1
	s_load_dwordx2 s[8:9], s[4:5], 0x68
	s_load_dwordx2 s[18:19], s[4:5], 0x50
	s_waitcnt lgkmcnt(0)
	s_sub_u32 s4, s20, s16
	s_subb_u32 s5, s21, 0
	s_add_u32 s1, s28, 8
	s_addc_u32 s3, s29, 0
	s_add_u32 s6, s10, s26
	s_addc_u32 s7, s11, s27
	s_cmp_eq_u64 s[10:11], 0
	s_mul_hi_u32 s28, s4, s24
	s_cselect_b32 s7, s3, s7
	s_cselect_b32 s6, s1, s6
	v_cmp_gt_i32_e64 s3, 32, v10
	s_load_dwordx2 s[26:27], s[6:7], 0x0
	v_cmp_eq_u32_e64 s1, 15, v15
	s_mul_i32 s29, s5, s24
	s_mul_i32 s10, s4, s24
	v_cndmask_b32_e64 v10, v9, v10, s3
	v_cmp_gt_i32_e64 s3, 32, v11
	v_lshlrev_b32_e32 v24, 2, v10
	v_cndmask_b32_e64 v11, v9, v11, s3
	v_cmp_gt_i32_e64 s3, 32, v12
	v_lshlrev_b32_e32 v25, 2, v11
	v_cndmask_b32_e64 v12, v9, v12, s3
	v_cmp_gt_i32_e64 s3, 32, v14
	s_waitcnt lgkmcnt(0)
	s_sub_u32 s6, s26, s16
	s_subb_u32 s7, s27, 0
	v_cndmask_b32_e64 v9, v9, v14, s3
	s_mul_i32 s3, s4, s23
	s_cmp_lg_u32 s30, 0
	v_cmp_lt_i64_e64 s11, s[20:21], s[26:27]
	v_lshlrev_b32_e32 v26, 2, v12
	v_lshlrev_b32_e32 v27, 2, v9
	s_cselect_b32 s20, -1, 0
	s_add_i32 s3, s28, s3
	s_and_b32 s21, vcc_lo, s2
	s_add_i32 s26, s3, s29
	s_lshl_b32 s27, s17, 4
	s_branch .LBB94_8
.LBB94_7:                               ;   in Loop: Header=BB94_8 Depth=1
	s_or_b32 exec_lo, exec_lo, s2
	v_add_nc_u32_e32 v13, 16, v13
	v_add_nc_u32_e32 v0, s27, v0
	v_cmp_le_i32_e32 vcc_lo, s17, v13
	s_or_b32 s22, vcc_lo, s22
	s_andn2_b32 exec_lo, exec_lo, s22
	s_cbranch_execz .LBB94_24
.LBB94_8:                               ; =>This Loop Header: Depth=1
                                        ;     Child Loop BB94_12 Depth 2
                                        ;       Child Loop BB94_15 Depth 3
	v_mov_b32_e32 v9, 0
	v_mov_b32_e32 v11, 0
	;; [unrolled: 1-line block ×4, first 2 shown]
	s_andn2_b32 vcc_lo, exec_lo, s11
	s_cbranch_vccnz .LBB94_19
; %bb.9:                                ;   in Loop: Header=BB94_8 Depth=1
	v_ashrrev_i32_e32 v11, 31, v0
	v_add_co_u32 v28, vcc_lo, s10, v0
	v_mov_b32_e32 v9, 0
	v_mov_b32_e32 v10, 0
	v_add_co_ci_u32_e64 v29, null, s26, v11, vcc_lo
	v_mov_b32_e32 v11, 0
	v_mov_b32_e32 v12, 0
	v_ashrrev_i32_e32 v14, 31, v13
	s_mov_b64 s[2:3], s[4:5]
	s_branch .LBB94_12
.LBB94_10:                              ;   in Loop: Header=BB94_12 Depth=2
	s_or_b32 exec_lo, exec_lo, s29
.LBB94_11:                              ;   in Loop: Header=BB94_12 Depth=2
	s_or_b32 exec_lo, exec_lo, s28
	s_add_u32 s2, s2, 1
	s_addc_u32 s3, s3, 0
	v_add_co_u32 v28, vcc_lo, v28, s24
	v_cmp_ge_i64_e64 s28, s[2:3], s[6:7]
	v_add_co_ci_u32_e64 v29, null, s23, v29, vcc_lo
	s_and_b32 vcc_lo, exec_lo, s28
	s_cbranch_vccnz .LBB94_19
.LBB94_12:                              ;   Parent Loop BB94_8 Depth=1
                                        ; =>  This Loop Header: Depth=2
                                        ;       Child Loop BB94_15 Depth 3
	s_and_saveexec_b32 s28, s0
	s_cbranch_execz .LBB94_11
; %bb.13:                               ;   in Loop: Header=BB94_12 Depth=2
	s_lshl_b64 s[30:31], s[2:3], 2
	s_waitcnt lgkmcnt(2)
	v_mad_u64_u32 v[17:18], null, s24, s2, v[13:14]
	s_add_u32 s30, s12, s30
	s_addc_u32 s31, s13, s31
	s_waitcnt lgkmcnt(0)
	v_mov_b32_e32 v20, v16
	s_load_dword s29, s[30:31], 0x0
	s_mul_i32 s30, s23, s2
	s_mul_i32 s31, s24, s3
	v_mov_b32_e32 v30, v23
	v_mov_b32_e32 v19, v15
	v_add3_u32 v18, s31, s30, v18
	s_waitcnt lgkmcnt(0)
	s_sub_i32 s29, s29, s16
	s_mul_i32 s30, s29, s17
	s_mov_b32 s29, 0
	s_branch .LBB94_15
.LBB94_14:                              ;   in Loop: Header=BB94_15 Depth=3
	v_add_nc_u32_e32 v31, s30, v19
	v_lshlrev_b64 v[21:22], 3, v[21:22]
	v_add_nc_u32_e32 v30, s27, v30
	v_ashrrev_i32_e32 v32, 31, v31
	v_add_co_u32 v21, vcc_lo, s14, v21
	v_add_co_ci_u32_e64 v22, null, s15, v22, vcc_lo
	v_lshlrev_b64 v[31:32], 4, v[31:32]
	v_add_co_u32 v31, vcc_lo, s18, v31
	v_add_co_ci_u32_e64 v32, null, s19, v32, vcc_lo
	v_add_co_u32 v19, vcc_lo, v19, 16
	global_load_dwordx2 v[21:22], v[21:22], off
	global_load_dwordx4 v[31:34], v[31:32], off
	v_add_co_ci_u32_e64 v20, null, 0, v20, vcc_lo
	v_cmp_le_i32_e32 vcc_lo, s17, v19
	s_or_b32 s29, vcc_lo, s29
	s_waitcnt vmcnt(0)
	v_fma_f64 v[11:12], v[21:22], v[31:32], v[11:12]
	v_fma_f64 v[9:10], v[31:32], 0, v[9:10]
	;; [unrolled: 1-line block ×4, first 2 shown]
	s_andn2_b32 exec_lo, exec_lo, s29
	s_cbranch_execz .LBB94_10
.LBB94_15:                              ;   Parent Loop BB94_8 Depth=1
                                        ;     Parent Loop BB94_12 Depth=2
                                        ; =>    This Inner Loop Header: Depth=3
	s_and_b32 vcc_lo, exec_lo, s20
	s_cbranch_vccz .LBB94_17
; %bb.16:                               ;   in Loop: Header=BB94_15 Depth=3
	v_ashrrev_i32_e32 v22, 31, v30
	v_add_co_u32 v21, vcc_lo, v17, v30
	v_add_co_ci_u32_e64 v22, null, v18, v22, vcc_lo
	s_cbranch_execnz .LBB94_14
	s_branch .LBB94_18
.LBB94_17:                              ;   in Loop: Header=BB94_15 Depth=3
                                        ; implicit-def: $vgpr21_vgpr22
.LBB94_18:                              ;   in Loop: Header=BB94_15 Depth=3
	v_add_co_u32 v21, vcc_lo, v28, v19
	v_add_co_ci_u32_e64 v22, null, v29, v20, vcc_lo
	s_branch .LBB94_14
.LBB94_19:                              ;   in Loop: Header=BB94_8 Depth=1
	s_waitcnt lgkmcnt(3)
	ds_bpermute_b32 v17, v24, v11
	s_waitcnt lgkmcnt(3)
	ds_bpermute_b32 v18, v24, v12
	;; [unrolled: 2-line block ×4, first 2 shown]
	s_waitcnt lgkmcnt(2)
	v_add_f64 v[11:12], v[11:12], v[17:18]
	s_waitcnt lgkmcnt(0)
	v_add_f64 v[9:10], v[9:10], v[19:20]
	ds_bpermute_b32 v17, v25, v11
	ds_bpermute_b32 v18, v25, v12
	ds_bpermute_b32 v19, v25, v9
	ds_bpermute_b32 v20, v25, v10
	s_waitcnt lgkmcnt(2)
	v_add_f64 v[11:12], v[11:12], v[17:18]
	s_waitcnt lgkmcnt(0)
	v_add_f64 v[17:18], v[9:10], v[19:20]
	ds_bpermute_b32 v9, v26, v11
	ds_bpermute_b32 v10, v26, v12
	ds_bpermute_b32 v19, v26, v17
	ds_bpermute_b32 v20, v26, v18
	;; [unrolled: 8-line block ×3, first 2 shown]
	s_and_saveexec_b32 s2, s1
	s_cbranch_execz .LBB94_7
; %bb.20:                               ;   in Loop: Header=BB94_8 Depth=1
	s_waitcnt lgkmcnt(0)
	v_add_f64 v[11:12], v[11:12], v[19:20]
	v_add_f64 v[17:18], v[9:10], v[17:18]
	v_mul_f64 v[9:10], v[11:12], -v[3:4]
	v_mul_f64 v[11:12], v[1:2], v[11:12]
	v_fma_f64 v[9:10], v[1:2], v[17:18], v[9:10]
	v_fma_f64 v[11:12], v[3:4], v[17:18], v[11:12]
	v_add_nc_u32_e32 v17, s25, v13
	v_ashrrev_i32_e32 v18, 31, v17
	s_and_saveexec_b32 s3, s21
	s_xor_b32 s3, exec_lo, s3
	s_cbranch_execz .LBB94_22
; %bb.21:                               ;   in Loop: Header=BB94_8 Depth=1
	v_lshlrev_b64 v[17:18], 4, v[17:18]
	v_add_co_u32 v17, vcc_lo, s8, v17
	v_add_co_ci_u32_e64 v18, null, s9, v18, vcc_lo
	global_store_dwordx4 v[17:18], v[9:12], off
                                        ; implicit-def: $vgpr17
                                        ; implicit-def: $vgpr9_vgpr10
.LBB94_22:                              ;   in Loop: Header=BB94_8 Depth=1
	s_andn2_saveexec_b32 s3, s3
	s_cbranch_execz .LBB94_7
; %bb.23:                               ;   in Loop: Header=BB94_8 Depth=1
	v_lshlrev_b64 v[17:18], 4, v[17:18]
	v_add_co_u32 v21, vcc_lo, s8, v17
	v_add_co_ci_u32_e64 v22, null, s9, v18, vcc_lo
	global_load_dwordx4 v[17:20], v[21:22], off
	s_waitcnt vmcnt(0)
	v_fma_f64 v[9:10], v[5:6], v[17:18], v[9:10]
	v_fma_f64 v[11:12], v[7:8], v[17:18], v[11:12]
	v_fma_f64 v[9:10], -v[7:8], v[19:20], v[9:10]
	v_fma_f64 v[11:12], v[5:6], v[19:20], v[11:12]
	global_store_dwordx4 v[21:22], v[9:12], off
	s_branch .LBB94_7
.LBB94_24:
	s_endpgm
	.section	.rodata,"a",@progbits
	.p2align	6, 0x0
	.amdhsa_kernel _ZN9rocsparseL22bsrxmvn_general_kernelILj256ELj16E21rocsparse_complex_numIdElidS2_S2_EEv20rocsparse_direction_NS_24const_host_device_scalarIT1_EET3_PKS7_PKT2_SC_S9_PKT4_S7_PKT5_S6_PT6_21rocsparse_index_base_b
		.amdhsa_group_segment_fixed_size 0
		.amdhsa_private_segment_fixed_size 0
		.amdhsa_kernarg_size 120
		.amdhsa_user_sgpr_count 6
		.amdhsa_user_sgpr_private_segment_buffer 1
		.amdhsa_user_sgpr_dispatch_ptr 0
		.amdhsa_user_sgpr_queue_ptr 0
		.amdhsa_user_sgpr_kernarg_segment_ptr 1
		.amdhsa_user_sgpr_dispatch_id 0
		.amdhsa_user_sgpr_flat_scratch_init 0
		.amdhsa_user_sgpr_private_segment_size 0
		.amdhsa_wavefront_size32 1
		.amdhsa_uses_dynamic_stack 0
		.amdhsa_system_sgpr_private_segment_wavefront_offset 0
		.amdhsa_system_sgpr_workgroup_id_x 1
		.amdhsa_system_sgpr_workgroup_id_y 0
		.amdhsa_system_sgpr_workgroup_id_z 0
		.amdhsa_system_sgpr_workgroup_info 0
		.amdhsa_system_vgpr_workitem_id 0
		.amdhsa_next_free_vgpr 35
		.amdhsa_next_free_sgpr 32
		.amdhsa_reserve_vcc 1
		.amdhsa_reserve_flat_scratch 0
		.amdhsa_float_round_mode_32 0
		.amdhsa_float_round_mode_16_64 0
		.amdhsa_float_denorm_mode_32 3
		.amdhsa_float_denorm_mode_16_64 3
		.amdhsa_dx10_clamp 1
		.amdhsa_ieee_mode 1
		.amdhsa_fp16_overflow 0
		.amdhsa_workgroup_processor_mode 1
		.amdhsa_memory_ordered 1
		.amdhsa_forward_progress 1
		.amdhsa_shared_vgpr_count 0
		.amdhsa_exception_fp_ieee_invalid_op 0
		.amdhsa_exception_fp_denorm_src 0
		.amdhsa_exception_fp_ieee_div_zero 0
		.amdhsa_exception_fp_ieee_overflow 0
		.amdhsa_exception_fp_ieee_underflow 0
		.amdhsa_exception_fp_ieee_inexact 0
		.amdhsa_exception_int_div_zero 0
	.end_amdhsa_kernel
	.section	.text._ZN9rocsparseL22bsrxmvn_general_kernelILj256ELj16E21rocsparse_complex_numIdElidS2_S2_EEv20rocsparse_direction_NS_24const_host_device_scalarIT1_EET3_PKS7_PKT2_SC_S9_PKT4_S7_PKT5_S6_PT6_21rocsparse_index_base_b,"axG",@progbits,_ZN9rocsparseL22bsrxmvn_general_kernelILj256ELj16E21rocsparse_complex_numIdElidS2_S2_EEv20rocsparse_direction_NS_24const_host_device_scalarIT1_EET3_PKS7_PKT2_SC_S9_PKT4_S7_PKT5_S6_PT6_21rocsparse_index_base_b,comdat
.Lfunc_end94:
	.size	_ZN9rocsparseL22bsrxmvn_general_kernelILj256ELj16E21rocsparse_complex_numIdElidS2_S2_EEv20rocsparse_direction_NS_24const_host_device_scalarIT1_EET3_PKS7_PKT2_SC_S9_PKT4_S7_PKT5_S6_PT6_21rocsparse_index_base_b, .Lfunc_end94-_ZN9rocsparseL22bsrxmvn_general_kernelILj256ELj16E21rocsparse_complex_numIdElidS2_S2_EEv20rocsparse_direction_NS_24const_host_device_scalarIT1_EET3_PKS7_PKT2_SC_S9_PKT4_S7_PKT5_S6_PT6_21rocsparse_index_base_b
                                        ; -- End function
	.set _ZN9rocsparseL22bsrxmvn_general_kernelILj256ELj16E21rocsparse_complex_numIdElidS2_S2_EEv20rocsparse_direction_NS_24const_host_device_scalarIT1_EET3_PKS7_PKT2_SC_S9_PKT4_S7_PKT5_S6_PT6_21rocsparse_index_base_b.num_vgpr, 35
	.set _ZN9rocsparseL22bsrxmvn_general_kernelILj256ELj16E21rocsparse_complex_numIdElidS2_S2_EEv20rocsparse_direction_NS_24const_host_device_scalarIT1_EET3_PKS7_PKT2_SC_S9_PKT4_S7_PKT5_S6_PT6_21rocsparse_index_base_b.num_agpr, 0
	.set _ZN9rocsparseL22bsrxmvn_general_kernelILj256ELj16E21rocsparse_complex_numIdElidS2_S2_EEv20rocsparse_direction_NS_24const_host_device_scalarIT1_EET3_PKS7_PKT2_SC_S9_PKT4_S7_PKT5_S6_PT6_21rocsparse_index_base_b.numbered_sgpr, 32
	.set _ZN9rocsparseL22bsrxmvn_general_kernelILj256ELj16E21rocsparse_complex_numIdElidS2_S2_EEv20rocsparse_direction_NS_24const_host_device_scalarIT1_EET3_PKS7_PKT2_SC_S9_PKT4_S7_PKT5_S6_PT6_21rocsparse_index_base_b.num_named_barrier, 0
	.set _ZN9rocsparseL22bsrxmvn_general_kernelILj256ELj16E21rocsparse_complex_numIdElidS2_S2_EEv20rocsparse_direction_NS_24const_host_device_scalarIT1_EET3_PKS7_PKT2_SC_S9_PKT4_S7_PKT5_S6_PT6_21rocsparse_index_base_b.private_seg_size, 0
	.set _ZN9rocsparseL22bsrxmvn_general_kernelILj256ELj16E21rocsparse_complex_numIdElidS2_S2_EEv20rocsparse_direction_NS_24const_host_device_scalarIT1_EET3_PKS7_PKT2_SC_S9_PKT4_S7_PKT5_S6_PT6_21rocsparse_index_base_b.uses_vcc, 1
	.set _ZN9rocsparseL22bsrxmvn_general_kernelILj256ELj16E21rocsparse_complex_numIdElidS2_S2_EEv20rocsparse_direction_NS_24const_host_device_scalarIT1_EET3_PKS7_PKT2_SC_S9_PKT4_S7_PKT5_S6_PT6_21rocsparse_index_base_b.uses_flat_scratch, 0
	.set _ZN9rocsparseL22bsrxmvn_general_kernelILj256ELj16E21rocsparse_complex_numIdElidS2_S2_EEv20rocsparse_direction_NS_24const_host_device_scalarIT1_EET3_PKS7_PKT2_SC_S9_PKT4_S7_PKT5_S6_PT6_21rocsparse_index_base_b.has_dyn_sized_stack, 0
	.set _ZN9rocsparseL22bsrxmvn_general_kernelILj256ELj16E21rocsparse_complex_numIdElidS2_S2_EEv20rocsparse_direction_NS_24const_host_device_scalarIT1_EET3_PKS7_PKT2_SC_S9_PKT4_S7_PKT5_S6_PT6_21rocsparse_index_base_b.has_recursion, 0
	.set _ZN9rocsparseL22bsrxmvn_general_kernelILj256ELj16E21rocsparse_complex_numIdElidS2_S2_EEv20rocsparse_direction_NS_24const_host_device_scalarIT1_EET3_PKS7_PKT2_SC_S9_PKT4_S7_PKT5_S6_PT6_21rocsparse_index_base_b.has_indirect_call, 0
	.section	.AMDGPU.csdata,"",@progbits
; Kernel info:
; codeLenInByte = 1468
; TotalNumSgprs: 34
; NumVgprs: 35
; ScratchSize: 0
; MemoryBound: 0
; FloatMode: 240
; IeeeMode: 1
; LDSByteSize: 0 bytes/workgroup (compile time only)
; SGPRBlocks: 0
; VGPRBlocks: 4
; NumSGPRsForWavesPerEU: 34
; NumVGPRsForWavesPerEU: 35
; Occupancy: 16
; WaveLimiterHint : 1
; COMPUTE_PGM_RSRC2:SCRATCH_EN: 0
; COMPUTE_PGM_RSRC2:USER_SGPR: 6
; COMPUTE_PGM_RSRC2:TRAP_HANDLER: 0
; COMPUTE_PGM_RSRC2:TGID_X_EN: 1
; COMPUTE_PGM_RSRC2:TGID_Y_EN: 0
; COMPUTE_PGM_RSRC2:TGID_Z_EN: 0
; COMPUTE_PGM_RSRC2:TIDIG_COMP_CNT: 0
	.section	.text._ZN9rocsparseL22bsrxmvn_general_kernelILj1024ELj32E21rocsparse_complex_numIdElidS2_S2_EEv20rocsparse_direction_NS_24const_host_device_scalarIT1_EET3_PKS7_PKT2_SC_S9_PKT4_S7_PKT5_S6_PT6_21rocsparse_index_base_b,"axG",@progbits,_ZN9rocsparseL22bsrxmvn_general_kernelILj1024ELj32E21rocsparse_complex_numIdElidS2_S2_EEv20rocsparse_direction_NS_24const_host_device_scalarIT1_EET3_PKS7_PKT2_SC_S9_PKT4_S7_PKT5_S6_PT6_21rocsparse_index_base_b,comdat
	.globl	_ZN9rocsparseL22bsrxmvn_general_kernelILj1024ELj32E21rocsparse_complex_numIdElidS2_S2_EEv20rocsparse_direction_NS_24const_host_device_scalarIT1_EET3_PKS7_PKT2_SC_S9_PKT4_S7_PKT5_S6_PT6_21rocsparse_index_base_b ; -- Begin function _ZN9rocsparseL22bsrxmvn_general_kernelILj1024ELj32E21rocsparse_complex_numIdElidS2_S2_EEv20rocsparse_direction_NS_24const_host_device_scalarIT1_EET3_PKS7_PKT2_SC_S9_PKT4_S7_PKT5_S6_PT6_21rocsparse_index_base_b
	.p2align	8
	.type	_ZN9rocsparseL22bsrxmvn_general_kernelILj1024ELj32E21rocsparse_complex_numIdElidS2_S2_EEv20rocsparse_direction_NS_24const_host_device_scalarIT1_EET3_PKS7_PKT2_SC_S9_PKT4_S7_PKT5_S6_PT6_21rocsparse_index_base_b,@function
_ZN9rocsparseL22bsrxmvn_general_kernelILj1024ELj32E21rocsparse_complex_numIdElidS2_S2_EEv20rocsparse_direction_NS_24const_host_device_scalarIT1_EET3_PKS7_PKT2_SC_S9_PKT4_S7_PKT5_S6_PT6_21rocsparse_index_base_b: ; @_ZN9rocsparseL22bsrxmvn_general_kernelILj1024ELj32E21rocsparse_complex_numIdElidS2_S2_EEv20rocsparse_direction_NS_24const_host_device_scalarIT1_EET3_PKS7_PKT2_SC_S9_PKT4_S7_PKT5_S6_PT6_21rocsparse_index_base_b
; %bb.0:
	s_clause 0x1
	s_load_dwordx2 s[16:17], s[4:5], 0x70
	s_load_dwordx2 s[0:1], s[4:5], 0x8
	s_add_u32 s7, s4, 8
	s_addc_u32 s8, s5, 0
	s_add_u32 s9, s4, 0x58
	s_addc_u32 s10, s5, 0
	s_load_dwordx2 s[2:3], s[4:5], 0x58
	s_waitcnt lgkmcnt(0)
	s_bitcmp1_b32 s17, 0
	s_cselect_b32 s0, s7, s0
	s_cselect_b32 s1, s8, s1
	v_mov_b32_e32 v1, s0
	v_mov_b32_e32 v2, s1
	s_cselect_b32 s0, s9, s2
	s_cselect_b32 s1, s10, s3
	v_mov_b32_e32 v5, s0
	v_mov_b32_e32 v6, s1
	flat_load_dwordx4 v[1:4], v[1:2]
	flat_load_dwordx4 v[5:8], v[5:6]
	s_waitcnt vmcnt(1) lgkmcnt(1)
	v_cmp_eq_f64_e32 vcc_lo, 0, v[1:2]
	v_cmp_eq_f64_e64 s0, 0, v[3:4]
	s_and_b32 s2, vcc_lo, s0
	s_mov_b32 s0, -1
	s_and_saveexec_b32 s1, s2
	s_cbranch_execz .LBB95_2
; %bb.1:
	s_waitcnt vmcnt(0) lgkmcnt(0)
	v_cmp_neq_f64_e32 vcc_lo, 1.0, v[5:6]
	v_cmp_neq_f64_e64 s0, 0, v[7:8]
	s_or_b32 s0, vcc_lo, s0
	s_orn2_b32 s0, s0, exec_lo
.LBB95_2:
	s_or_b32 exec_lo, exec_lo, s1
	s_and_saveexec_b32 s1, s0
	s_cbranch_execz .LBB95_24
; %bb.3:
	s_load_dwordx2 s[0:1], s[4:5], 0x20
	s_waitcnt lgkmcnt(0)
	s_cmp_eq_u64 s[0:1], 0
	s_cbranch_scc1 .LBB95_5
; %bb.4:
	s_ashr_i32 s7, s6, 31
	s_lshl_b64 s[2:3], s[6:7], 2
	s_add_u32 s0, s0, s2
	s_addc_u32 s1, s1, s3
	s_load_dword s0, s[0:1], 0x0
	s_waitcnt lgkmcnt(0)
	s_sub_i32 s6, s0, s16
.LBB95_5:
	s_load_dword s17, s[4:5], 0x48
	v_lshrrev_b32_e32 v13, 5, v0
	s_waitcnt lgkmcnt(0)
	v_cmp_gt_i32_e32 vcc_lo, s17, v13
	s_and_b32 exec_lo, exec_lo, vcc_lo
	s_cbranch_execz .LBB95_24
; %bb.6:
	s_load_dwordx8 s[8:15], s[4:5], 0x28
	s_ashr_i32 s7, s6, 31
	v_mbcnt_lo_u32_b32 v9, -1, 0
	s_lshl_b64 s[26:27], s[6:7], 3
	s_load_dword s30, s[4:5], 0x0
	s_mul_i32 s25, s6, s17
	s_waitcnt vmcnt(0)
	v_cmp_eq_f64_e32 vcc_lo, 0, v[5:6]
	v_xor_b32_e32 v10, 16, v9
	v_xor_b32_e32 v11, 8, v9
	;; [unrolled: 1-line block ×4, first 2 shown]
	v_cmp_eq_f64_e64 s2, 0, v[7:8]
	v_xor_b32_e32 v18, 1, v9
	v_and_b32_e32 v15, 31, v0
	v_mov_b32_e32 v14, 0
	s_mul_hi_u32 s23, s17, s17
	s_mul_i32 s24, s17, s17
	v_mul_lo_u32 v0, s17, v13
	v_mul_lo_u32 v23, s17, v15
	v_cmp_gt_u32_e64 s0, s17, v15
	s_waitcnt lgkmcnt(0)
	s_add_u32 s28, s8, s26
	s_addc_u32 s29, s9, s27
	v_cmp_eq_u32_e64 s1, 31, v15
	s_load_dwordx2 s[20:21], s[28:29], 0x0
	s_clause 0x1
	s_load_dwordx2 s[8:9], s[4:5], 0x68
	s_load_dwordx2 s[18:19], s[4:5], 0x50
	v_mov_b32_e32 v16, v14
	s_mov_b32 s22, 0
	s_waitcnt lgkmcnt(0)
	s_sub_u32 s4, s20, s16
	s_subb_u32 s5, s21, 0
	s_add_u32 s3, s28, 8
	s_addc_u32 s6, s29, 0
	s_add_u32 s26, s10, s26
	s_addc_u32 s7, s11, s27
	s_cmp_eq_u64 s[10:11], 0
	s_mul_hi_u32 s28, s4, s24
	s_cselect_b32 s7, s6, s7
	s_cselect_b32 s6, s3, s26
	v_cmp_gt_i32_e64 s3, 32, v10
	s_load_dwordx2 s[26:27], s[6:7], 0x0
	s_mul_i32 s29, s5, s24
	s_mul_i32 s10, s4, s24
	v_cndmask_b32_e64 v10, v9, v10, s3
	v_cmp_gt_i32_e64 s3, 32, v11
	v_lshlrev_b32_e32 v24, 2, v10
	v_cndmask_b32_e64 v11, v9, v11, s3
	v_cmp_gt_i32_e64 s3, 32, v12
	v_lshlrev_b32_e32 v25, 2, v11
	v_cndmask_b32_e64 v12, v9, v12, s3
	v_cmp_gt_i32_e64 s3, 32, v17
	s_waitcnt lgkmcnt(0)
	s_sub_u32 s6, s26, s16
	s_subb_u32 s7, s27, 0
	v_cndmask_b32_e64 v17, v9, v17, s3
	v_cmp_gt_i32_e64 s3, 32, v18
	s_cmp_lg_u32 s30, 0
	v_cmp_lt_i64_e64 s11, s[20:21], s[26:27]
	v_lshlrev_b32_e32 v26, 2, v12
	v_lshlrev_b32_e32 v27, 2, v17
	v_cndmask_b32_e64 v9, v9, v18, s3
	s_mul_i32 s3, s4, s23
	s_cselect_b32 s20, -1, 0
	s_add_i32 s3, s28, s3
	s_and_b32 s21, vcc_lo, s2
	v_lshlrev_b32_e32 v28, 2, v9
	s_add_i32 s26, s3, s29
	s_lshl_b32 s27, s17, 5
	s_branch .LBB95_8
.LBB95_7:                               ;   in Loop: Header=BB95_8 Depth=1
	s_or_b32 exec_lo, exec_lo, s2
	v_add_nc_u32_e32 v13, 32, v13
	v_add_nc_u32_e32 v0, s27, v0
	v_cmp_le_i32_e32 vcc_lo, s17, v13
	s_or_b32 s22, vcc_lo, s22
	s_andn2_b32 exec_lo, exec_lo, s22
	s_cbranch_execz .LBB95_24
.LBB95_8:                               ; =>This Loop Header: Depth=1
                                        ;     Child Loop BB95_12 Depth 2
                                        ;       Child Loop BB95_15 Depth 3
	v_mov_b32_e32 v9, 0
	v_mov_b32_e32 v11, 0
	;; [unrolled: 1-line block ×4, first 2 shown]
	s_andn2_b32 vcc_lo, exec_lo, s11
	s_cbranch_vccnz .LBB95_19
; %bb.9:                                ;   in Loop: Header=BB95_8 Depth=1
	s_waitcnt lgkmcnt(3)
	v_ashrrev_i32_e32 v17, 31, v0
	v_add_co_u32 v29, vcc_lo, s10, v0
	v_mov_b32_e32 v9, 0
	v_mov_b32_e32 v11, 0
	;; [unrolled: 1-line block ×4, first 2 shown]
	v_add_co_ci_u32_e64 v30, null, s26, v17, vcc_lo
	s_mov_b64 s[2:3], s[4:5]
	s_branch .LBB95_12
.LBB95_10:                              ;   in Loop: Header=BB95_12 Depth=2
	s_or_b32 exec_lo, exec_lo, s29
.LBB95_11:                              ;   in Loop: Header=BB95_12 Depth=2
	s_or_b32 exec_lo, exec_lo, s28
	s_add_u32 s2, s2, 1
	s_addc_u32 s3, s3, 0
	v_add_co_u32 v29, vcc_lo, v29, s24
	v_cmp_ge_i64_e64 s28, s[2:3], s[6:7]
	v_add_co_ci_u32_e64 v30, null, s23, v30, vcc_lo
	s_and_b32 vcc_lo, exec_lo, s28
	s_cbranch_vccnz .LBB95_19
.LBB95_12:                              ;   Parent Loop BB95_8 Depth=1
                                        ; =>  This Loop Header: Depth=2
                                        ;       Child Loop BB95_15 Depth 3
	s_and_saveexec_b32 s28, s0
	s_cbranch_execz .LBB95_11
; %bb.13:                               ;   in Loop: Header=BB95_12 Depth=2
	s_lshl_b64 s[30:31], s[2:3], 2
	s_waitcnt lgkmcnt(2)
	v_mad_u64_u32 v[17:18], null, s24, s2, v[13:14]
	s_add_u32 s30, s12, s30
	s_addc_u32 s31, s13, s31
	s_waitcnt lgkmcnt(0)
	v_mov_b32_e32 v20, v16
	s_load_dword s29, s[30:31], 0x0
	s_mul_i32 s30, s23, s2
	s_mul_i32 s31, s24, s3
	v_mov_b32_e32 v31, v23
	v_mov_b32_e32 v19, v15
	v_add3_u32 v18, s31, s30, v18
	s_waitcnt lgkmcnt(0)
	s_sub_i32 s29, s29, s16
	s_mul_i32 s30, s29, s17
	s_mov_b32 s29, 0
	s_branch .LBB95_15
.LBB95_14:                              ;   in Loop: Header=BB95_15 Depth=3
	v_add_nc_u32_e32 v32, s30, v19
	v_lshlrev_b64 v[21:22], 3, v[21:22]
	v_add_nc_u32_e32 v31, s27, v31
	v_ashrrev_i32_e32 v33, 31, v32
	v_add_co_u32 v21, vcc_lo, s14, v21
	v_add_co_ci_u32_e64 v22, null, s15, v22, vcc_lo
	v_lshlrev_b64 v[32:33], 4, v[32:33]
	v_add_co_u32 v32, vcc_lo, s18, v32
	v_add_co_ci_u32_e64 v33, null, s19, v33, vcc_lo
	v_add_co_u32 v19, vcc_lo, v19, 32
	global_load_dwordx2 v[21:22], v[21:22], off
	global_load_dwordx4 v[32:35], v[32:33], off
	v_add_co_ci_u32_e64 v20, null, 0, v20, vcc_lo
	v_cmp_le_i32_e32 vcc_lo, s17, v19
	s_or_b32 s29, vcc_lo, s29
	s_waitcnt vmcnt(0)
	v_fma_f64 v[11:12], v[21:22], v[32:33], v[11:12]
	v_fma_f64 v[9:10], v[32:33], 0, v[9:10]
	v_fma_f64 v[11:12], 0x80000000, v[34:35], v[11:12]
	v_fma_f64 v[9:10], v[21:22], v[34:35], v[9:10]
	s_andn2_b32 exec_lo, exec_lo, s29
	s_cbranch_execz .LBB95_10
.LBB95_15:                              ;   Parent Loop BB95_8 Depth=1
                                        ;     Parent Loop BB95_12 Depth=2
                                        ; =>    This Inner Loop Header: Depth=3
	s_and_b32 vcc_lo, exec_lo, s20
	s_cbranch_vccz .LBB95_17
; %bb.16:                               ;   in Loop: Header=BB95_15 Depth=3
	v_ashrrev_i32_e32 v22, 31, v31
	v_add_co_u32 v21, vcc_lo, v17, v31
	v_add_co_ci_u32_e64 v22, null, v18, v22, vcc_lo
	s_cbranch_execnz .LBB95_14
	s_branch .LBB95_18
.LBB95_17:                              ;   in Loop: Header=BB95_15 Depth=3
                                        ; implicit-def: $vgpr21_vgpr22
.LBB95_18:                              ;   in Loop: Header=BB95_15 Depth=3
	v_add_co_u32 v21, vcc_lo, v29, v19
	v_add_co_ci_u32_e64 v22, null, v30, v20, vcc_lo
	s_branch .LBB95_14
.LBB95_19:                              ;   in Loop: Header=BB95_8 Depth=1
	s_waitcnt lgkmcnt(3)
	ds_bpermute_b32 v17, v24, v11
	s_waitcnt lgkmcnt(3)
	ds_bpermute_b32 v18, v24, v12
	;; [unrolled: 2-line block ×4, first 2 shown]
	s_waitcnt lgkmcnt(2)
	v_add_f64 v[11:12], v[11:12], v[17:18]
	s_waitcnt lgkmcnt(0)
	v_add_f64 v[9:10], v[9:10], v[19:20]
	ds_bpermute_b32 v17, v25, v11
	ds_bpermute_b32 v18, v25, v12
	ds_bpermute_b32 v19, v25, v9
	ds_bpermute_b32 v20, v25, v10
	s_waitcnt lgkmcnt(2)
	v_add_f64 v[11:12], v[11:12], v[17:18]
	s_waitcnt lgkmcnt(0)
	v_add_f64 v[9:10], v[9:10], v[19:20]
	ds_bpermute_b32 v17, v26, v11
	ds_bpermute_b32 v18, v26, v12
	ds_bpermute_b32 v19, v26, v9
	ds_bpermute_b32 v20, v26, v10
	;; [unrolled: 8-line block ×4, first 2 shown]
	s_and_saveexec_b32 s2, s1
	s_cbranch_execz .LBB95_7
; %bb.20:                               ;   in Loop: Header=BB95_8 Depth=1
	s_waitcnt lgkmcnt(0)
	v_add_f64 v[11:12], v[11:12], v[19:20]
	v_add_f64 v[17:18], v[9:10], v[17:18]
	v_mul_f64 v[9:10], v[11:12], -v[3:4]
	v_mul_f64 v[11:12], v[1:2], v[11:12]
	v_fma_f64 v[9:10], v[1:2], v[17:18], v[9:10]
	v_fma_f64 v[11:12], v[3:4], v[17:18], v[11:12]
	v_add_nc_u32_e32 v17, s25, v13
	v_ashrrev_i32_e32 v18, 31, v17
	s_and_saveexec_b32 s3, s21
	s_xor_b32 s3, exec_lo, s3
	s_cbranch_execz .LBB95_22
; %bb.21:                               ;   in Loop: Header=BB95_8 Depth=1
	v_lshlrev_b64 v[17:18], 4, v[17:18]
	v_add_co_u32 v17, vcc_lo, s8, v17
	v_add_co_ci_u32_e64 v18, null, s9, v18, vcc_lo
	global_store_dwordx4 v[17:18], v[9:12], off
                                        ; implicit-def: $vgpr17
                                        ; implicit-def: $vgpr9_vgpr10
.LBB95_22:                              ;   in Loop: Header=BB95_8 Depth=1
	s_andn2_saveexec_b32 s3, s3
	s_cbranch_execz .LBB95_7
; %bb.23:                               ;   in Loop: Header=BB95_8 Depth=1
	v_lshlrev_b64 v[17:18], 4, v[17:18]
	v_add_co_u32 v21, vcc_lo, s8, v17
	v_add_co_ci_u32_e64 v22, null, s9, v18, vcc_lo
	global_load_dwordx4 v[17:20], v[21:22], off
	s_waitcnt vmcnt(0)
	v_fma_f64 v[9:10], v[5:6], v[17:18], v[9:10]
	v_fma_f64 v[11:12], v[7:8], v[17:18], v[11:12]
	v_fma_f64 v[9:10], -v[7:8], v[19:20], v[9:10]
	v_fma_f64 v[11:12], v[5:6], v[19:20], v[11:12]
	global_store_dwordx4 v[21:22], v[9:12], off
	s_branch .LBB95_7
.LBB95_24:
	s_endpgm
	.section	.rodata,"a",@progbits
	.p2align	6, 0x0
	.amdhsa_kernel _ZN9rocsparseL22bsrxmvn_general_kernelILj1024ELj32E21rocsparse_complex_numIdElidS2_S2_EEv20rocsparse_direction_NS_24const_host_device_scalarIT1_EET3_PKS7_PKT2_SC_S9_PKT4_S7_PKT5_S6_PT6_21rocsparse_index_base_b
		.amdhsa_group_segment_fixed_size 0
		.amdhsa_private_segment_fixed_size 0
		.amdhsa_kernarg_size 120
		.amdhsa_user_sgpr_count 6
		.amdhsa_user_sgpr_private_segment_buffer 1
		.amdhsa_user_sgpr_dispatch_ptr 0
		.amdhsa_user_sgpr_queue_ptr 0
		.amdhsa_user_sgpr_kernarg_segment_ptr 1
		.amdhsa_user_sgpr_dispatch_id 0
		.amdhsa_user_sgpr_flat_scratch_init 0
		.amdhsa_user_sgpr_private_segment_size 0
		.amdhsa_wavefront_size32 1
		.amdhsa_uses_dynamic_stack 0
		.amdhsa_system_sgpr_private_segment_wavefront_offset 0
		.amdhsa_system_sgpr_workgroup_id_x 1
		.amdhsa_system_sgpr_workgroup_id_y 0
		.amdhsa_system_sgpr_workgroup_id_z 0
		.amdhsa_system_sgpr_workgroup_info 0
		.amdhsa_system_vgpr_workitem_id 0
		.amdhsa_next_free_vgpr 36
		.amdhsa_next_free_sgpr 32
		.amdhsa_reserve_vcc 1
		.amdhsa_reserve_flat_scratch 0
		.amdhsa_float_round_mode_32 0
		.amdhsa_float_round_mode_16_64 0
		.amdhsa_float_denorm_mode_32 3
		.amdhsa_float_denorm_mode_16_64 3
		.amdhsa_dx10_clamp 1
		.amdhsa_ieee_mode 1
		.amdhsa_fp16_overflow 0
		.amdhsa_workgroup_processor_mode 1
		.amdhsa_memory_ordered 1
		.amdhsa_forward_progress 1
		.amdhsa_shared_vgpr_count 0
		.amdhsa_exception_fp_ieee_invalid_op 0
		.amdhsa_exception_fp_denorm_src 0
		.amdhsa_exception_fp_ieee_div_zero 0
		.amdhsa_exception_fp_ieee_overflow 0
		.amdhsa_exception_fp_ieee_underflow 0
		.amdhsa_exception_fp_ieee_inexact 0
		.amdhsa_exception_int_div_zero 0
	.end_amdhsa_kernel
	.section	.text._ZN9rocsparseL22bsrxmvn_general_kernelILj1024ELj32E21rocsparse_complex_numIdElidS2_S2_EEv20rocsparse_direction_NS_24const_host_device_scalarIT1_EET3_PKS7_PKT2_SC_S9_PKT4_S7_PKT5_S6_PT6_21rocsparse_index_base_b,"axG",@progbits,_ZN9rocsparseL22bsrxmvn_general_kernelILj1024ELj32E21rocsparse_complex_numIdElidS2_S2_EEv20rocsparse_direction_NS_24const_host_device_scalarIT1_EET3_PKS7_PKT2_SC_S9_PKT4_S7_PKT5_S6_PT6_21rocsparse_index_base_b,comdat
.Lfunc_end95:
	.size	_ZN9rocsparseL22bsrxmvn_general_kernelILj1024ELj32E21rocsparse_complex_numIdElidS2_S2_EEv20rocsparse_direction_NS_24const_host_device_scalarIT1_EET3_PKS7_PKT2_SC_S9_PKT4_S7_PKT5_S6_PT6_21rocsparse_index_base_b, .Lfunc_end95-_ZN9rocsparseL22bsrxmvn_general_kernelILj1024ELj32E21rocsparse_complex_numIdElidS2_S2_EEv20rocsparse_direction_NS_24const_host_device_scalarIT1_EET3_PKS7_PKT2_SC_S9_PKT4_S7_PKT5_S6_PT6_21rocsparse_index_base_b
                                        ; -- End function
	.set _ZN9rocsparseL22bsrxmvn_general_kernelILj1024ELj32E21rocsparse_complex_numIdElidS2_S2_EEv20rocsparse_direction_NS_24const_host_device_scalarIT1_EET3_PKS7_PKT2_SC_S9_PKT4_S7_PKT5_S6_PT6_21rocsparse_index_base_b.num_vgpr, 36
	.set _ZN9rocsparseL22bsrxmvn_general_kernelILj1024ELj32E21rocsparse_complex_numIdElidS2_S2_EEv20rocsparse_direction_NS_24const_host_device_scalarIT1_EET3_PKS7_PKT2_SC_S9_PKT4_S7_PKT5_S6_PT6_21rocsparse_index_base_b.num_agpr, 0
	.set _ZN9rocsparseL22bsrxmvn_general_kernelILj1024ELj32E21rocsparse_complex_numIdElidS2_S2_EEv20rocsparse_direction_NS_24const_host_device_scalarIT1_EET3_PKS7_PKT2_SC_S9_PKT4_S7_PKT5_S6_PT6_21rocsparse_index_base_b.numbered_sgpr, 32
	.set _ZN9rocsparseL22bsrxmvn_general_kernelILj1024ELj32E21rocsparse_complex_numIdElidS2_S2_EEv20rocsparse_direction_NS_24const_host_device_scalarIT1_EET3_PKS7_PKT2_SC_S9_PKT4_S7_PKT5_S6_PT6_21rocsparse_index_base_b.num_named_barrier, 0
	.set _ZN9rocsparseL22bsrxmvn_general_kernelILj1024ELj32E21rocsparse_complex_numIdElidS2_S2_EEv20rocsparse_direction_NS_24const_host_device_scalarIT1_EET3_PKS7_PKT2_SC_S9_PKT4_S7_PKT5_S6_PT6_21rocsparse_index_base_b.private_seg_size, 0
	.set _ZN9rocsparseL22bsrxmvn_general_kernelILj1024ELj32E21rocsparse_complex_numIdElidS2_S2_EEv20rocsparse_direction_NS_24const_host_device_scalarIT1_EET3_PKS7_PKT2_SC_S9_PKT4_S7_PKT5_S6_PT6_21rocsparse_index_base_b.uses_vcc, 1
	.set _ZN9rocsparseL22bsrxmvn_general_kernelILj1024ELj32E21rocsparse_complex_numIdElidS2_S2_EEv20rocsparse_direction_NS_24const_host_device_scalarIT1_EET3_PKS7_PKT2_SC_S9_PKT4_S7_PKT5_S6_PT6_21rocsparse_index_base_b.uses_flat_scratch, 0
	.set _ZN9rocsparseL22bsrxmvn_general_kernelILj1024ELj32E21rocsparse_complex_numIdElidS2_S2_EEv20rocsparse_direction_NS_24const_host_device_scalarIT1_EET3_PKS7_PKT2_SC_S9_PKT4_S7_PKT5_S6_PT6_21rocsparse_index_base_b.has_dyn_sized_stack, 0
	.set _ZN9rocsparseL22bsrxmvn_general_kernelILj1024ELj32E21rocsparse_complex_numIdElidS2_S2_EEv20rocsparse_direction_NS_24const_host_device_scalarIT1_EET3_PKS7_PKT2_SC_S9_PKT4_S7_PKT5_S6_PT6_21rocsparse_index_base_b.has_recursion, 0
	.set _ZN9rocsparseL22bsrxmvn_general_kernelILj1024ELj32E21rocsparse_complex_numIdElidS2_S2_EEv20rocsparse_direction_NS_24const_host_device_scalarIT1_EET3_PKS7_PKT2_SC_S9_PKT4_S7_PKT5_S6_PT6_21rocsparse_index_base_b.has_indirect_call, 0
	.section	.AMDGPU.csdata,"",@progbits
; Kernel info:
; codeLenInByte = 1552
; TotalNumSgprs: 34
; NumVgprs: 36
; ScratchSize: 0
; MemoryBound: 0
; FloatMode: 240
; IeeeMode: 1
; LDSByteSize: 0 bytes/workgroup (compile time only)
; SGPRBlocks: 0
; VGPRBlocks: 4
; NumSGPRsForWavesPerEU: 34
; NumVGPRsForWavesPerEU: 36
; Occupancy: 16
; WaveLimiterHint : 1
; COMPUTE_PGM_RSRC2:SCRATCH_EN: 0
; COMPUTE_PGM_RSRC2:USER_SGPR: 6
; COMPUTE_PGM_RSRC2:TRAP_HANDLER: 0
; COMPUTE_PGM_RSRC2:TGID_X_EN: 1
; COMPUTE_PGM_RSRC2:TGID_Y_EN: 0
; COMPUTE_PGM_RSRC2:TGID_Z_EN: 0
; COMPUTE_PGM_RSRC2:TIDIG_COMP_CNT: 0
	.section	.text._ZN9rocsparseL22bsrxmvn_general_kernelILj64ELj8E21rocsparse_complex_numIdElldS2_S2_EEv20rocsparse_direction_NS_24const_host_device_scalarIT1_EET3_PKS7_PKT2_SC_S9_PKT4_S7_PKT5_S6_PT6_21rocsparse_index_base_b,"axG",@progbits,_ZN9rocsparseL22bsrxmvn_general_kernelILj64ELj8E21rocsparse_complex_numIdElldS2_S2_EEv20rocsparse_direction_NS_24const_host_device_scalarIT1_EET3_PKS7_PKT2_SC_S9_PKT4_S7_PKT5_S6_PT6_21rocsparse_index_base_b,comdat
	.globl	_ZN9rocsparseL22bsrxmvn_general_kernelILj64ELj8E21rocsparse_complex_numIdElldS2_S2_EEv20rocsparse_direction_NS_24const_host_device_scalarIT1_EET3_PKS7_PKT2_SC_S9_PKT4_S7_PKT5_S6_PT6_21rocsparse_index_base_b ; -- Begin function _ZN9rocsparseL22bsrxmvn_general_kernelILj64ELj8E21rocsparse_complex_numIdElldS2_S2_EEv20rocsparse_direction_NS_24const_host_device_scalarIT1_EET3_PKS7_PKT2_SC_S9_PKT4_S7_PKT5_S6_PT6_21rocsparse_index_base_b
	.p2align	8
	.type	_ZN9rocsparseL22bsrxmvn_general_kernelILj64ELj8E21rocsparse_complex_numIdElldS2_S2_EEv20rocsparse_direction_NS_24const_host_device_scalarIT1_EET3_PKS7_PKT2_SC_S9_PKT4_S7_PKT5_S6_PT6_21rocsparse_index_base_b,@function
_ZN9rocsparseL22bsrxmvn_general_kernelILj64ELj8E21rocsparse_complex_numIdElldS2_S2_EEv20rocsparse_direction_NS_24const_host_device_scalarIT1_EET3_PKS7_PKT2_SC_S9_PKT4_S7_PKT5_S6_PT6_21rocsparse_index_base_b: ; @_ZN9rocsparseL22bsrxmvn_general_kernelILj64ELj8E21rocsparse_complex_numIdElldS2_S2_EEv20rocsparse_direction_NS_24const_host_device_scalarIT1_EET3_PKS7_PKT2_SC_S9_PKT4_S7_PKT5_S6_PT6_21rocsparse_index_base_b
; %bb.0:
	s_clause 0x1
	s_load_dwordx2 s[16:17], s[4:5], 0x70
	s_load_dwordx2 s[0:1], s[4:5], 0x8
	s_add_u32 s7, s4, 8
	s_addc_u32 s8, s5, 0
	s_add_u32 s9, s4, 0x58
	s_addc_u32 s10, s5, 0
	s_load_dwordx2 s[2:3], s[4:5], 0x58
	s_waitcnt lgkmcnt(0)
	s_bitcmp1_b32 s17, 0
	s_cselect_b32 s0, s7, s0
	s_cselect_b32 s1, s8, s1
	v_mov_b32_e32 v1, s0
	v_mov_b32_e32 v2, s1
	s_cselect_b32 s0, s9, s2
	s_cselect_b32 s1, s10, s3
	v_mov_b32_e32 v5, s0
	v_mov_b32_e32 v6, s1
	flat_load_dwordx4 v[1:4], v[1:2]
	flat_load_dwordx4 v[5:8], v[5:6]
	s_waitcnt vmcnt(1) lgkmcnt(1)
	v_cmp_eq_f64_e32 vcc_lo, 0, v[1:2]
	v_cmp_eq_f64_e64 s0, 0, v[3:4]
	s_and_b32 s2, vcc_lo, s0
	s_mov_b32 s0, -1
	s_and_saveexec_b32 s1, s2
	s_cbranch_execz .LBB96_2
; %bb.1:
	s_waitcnt vmcnt(0) lgkmcnt(0)
	v_cmp_neq_f64_e32 vcc_lo, 1.0, v[5:6]
	v_cmp_neq_f64_e64 s0, 0, v[7:8]
	s_or_b32 s0, vcc_lo, s0
	s_orn2_b32 s0, s0, exec_lo
.LBB96_2:
	s_or_b32 exec_lo, exec_lo, s1
	s_and_saveexec_b32 s1, s0
	s_cbranch_execz .LBB96_24
; %bb.3:
	s_load_dwordx2 s[0:1], s[4:5], 0x20
	s_mov_b32 s7, 0
	s_waitcnt lgkmcnt(0)
	s_cmp_eq_u64 s[0:1], 0
	s_cbranch_scc1 .LBB96_5
; %bb.4:
	s_lshl_b64 s[2:3], s[6:7], 3
	s_add_u32 s0, s0, s2
	s_addc_u32 s1, s1, s3
	s_load_dwordx2 s[0:1], s[0:1], 0x0
	s_waitcnt lgkmcnt(0)
	s_sub_u32 s6, s0, s16
	s_subb_u32 s7, s1, 0
.LBB96_5:
	s_load_dwordx2 s[18:19], s[4:5], 0x48
	v_lshrrev_b32_e32 v13, 3, v0
	v_mov_b32_e32 v14, 0
	s_waitcnt lgkmcnt(0)
	v_cmp_gt_i64_e32 vcc_lo, s[18:19], v[13:14]
	s_and_b32 exec_lo, exec_lo, vcc_lo
	s_cbranch_execz .LBB96_24
; %bb.6:
	s_load_dwordx8 s[8:15], s[4:5], 0x28
	s_lshl_b64 s[24:25], s[6:7], 3
	v_and_b32_e32 v15, 7, v0
	v_mbcnt_lo_u32_b32 v0, -1, 0
	s_load_dword s29, s[4:5], 0x0
	s_mul_i32 s30, s6, s19
	s_mul_hi_u32 s31, s6, s18
	s_mul_i32 s28, s6, s18
	v_xor_b32_e32 v9, 4, v0
	s_mul_i32 s33, s7, s18
	v_xor_b32_e32 v10, 2, v0
	v_xor_b32_e32 v11, 1, v0
	s_waitcnt vmcnt(0)
	v_cmp_eq_f64_e32 vcc_lo, 0, v[5:6]
	v_cmp_eq_f64_e64 s2, 0, v[7:8]
	v_lshlrev_b32_e32 v12, 4, v15
	v_mov_b32_e32 v16, v14
	s_mul_i32 s34, s18, s19
	s_mul_hi_u32 s35, s18, s18
	v_cmp_eq_u32_e64 s1, 7, v15
	s_mov_b32 s17, 0
	s_waitcnt lgkmcnt(0)
	s_add_u32 s26, s8, s24
	s_addc_u32 s27, s9, s25
	v_cmp_gt_u64_e64 s0, s[18:19], v[15:16]
	s_load_dwordx2 s[20:21], s[26:27], 0x0
	s_clause 0x1
	s_load_dwordx2 s[8:9], s[4:5], 0x68
	s_load_dwordx2 s[22:23], s[4:5], 0x50
	s_waitcnt lgkmcnt(0)
	s_sub_u32 s4, s20, s16
	s_subb_u32 s5, s21, 0
	s_add_u32 s3, s26, 8
	s_addc_u32 s6, s27, 0
	s_add_u32 s24, s10, s24
	s_addc_u32 s7, s11, s25
	s_cmp_eq_u64 s[10:11], 0
	s_mul_i32 s27, s18, s18
	s_cselect_b32 s7, s6, s7
	s_cselect_b32 s6, s3, s24
	v_cmp_gt_i32_e64 s3, 32, v9
	s_load_dwordx2 s[10:11], s[6:7], 0x0
	s_mul_i32 s6, s18, s5
	v_cndmask_b32_e64 v17, v0, v9, s3
	v_cmp_gt_i32_e64 s3, 32, v10
	v_cndmask_b32_e64 v18, v0, v10, s3
	v_cmp_gt_i32_e64 s3, 32, v11
	v_mad_u64_u32 v[9:10], null, s18, s4, v[13:14]
	v_lshlrev_b32_e32 v29, 2, v18
	v_cndmask_b32_e64 v11, v0, v11, s3
	s_mul_i32 s3, s19, s4
	v_lshlrev_b32_e32 v0, 2, v17
	v_add3_u32 v10, s6, s3, v10
	v_lshlrev_b32_e32 v30, 2, v11
	v_add_co_u32 v11, s3, s22, v12
	v_add_co_ci_u32_e64 v12, null, s23, 0, s3
	s_waitcnt lgkmcnt(0)
	s_sub_u32 s6, s10, s16
	s_subb_u32 s7, s11, 0
	v_mul_lo_u32 v21, s19, v9
	v_mad_u64_u32 v[17:18], null, s18, v9, 0
	v_mul_lo_u32 v9, s18, v10
	s_cmp_lg_u32 s29, 0
	v_add_co_u32 v19, s3, v11, 8
	v_add_co_ci_u32_e64 v20, null, 0, v12, s3
	s_cselect_b32 s3, -1, 0
	s_add_i32 s22, s31, s30
	s_and_b32 s23, vcc_lo, s2
	s_add_i32 s29, s22, s33
	v_cmp_lt_i64_e64 s22, s[20:21], s[10:11]
	s_lshl_b64 s[10:11], s[28:29], 4
	v_add3_u32 v18, v18, v9, v21
	s_add_u32 s24, s8, s10
	s_addc_u32 s25, s9, s11
	s_add_i32 s2, s35, s34
	s_lshl_b64 s[8:9], s[18:19], 4
	s_lshl_b64 s[10:11], s[18:19], 3
	s_add_i32 s26, s2, s34
	s_branch .LBB96_8
.LBB96_7:                               ;   in Loop: Header=BB96_8 Depth=1
	s_or_b32 exec_lo, exec_lo, s2
	v_add_co_u32 v13, vcc_lo, v13, 8
	v_add_co_ci_u32_e64 v14, null, 0, v14, vcc_lo
	v_add_co_u32 v17, s2, v17, s10
	v_add_co_ci_u32_e64 v18, null, s11, v18, s2
	v_cmp_le_i64_e32 vcc_lo, s[18:19], v[13:14]
	s_or_b32 s17, vcc_lo, s17
	s_andn2_b32 exec_lo, exec_lo, s17
	s_cbranch_execz .LBB96_24
.LBB96_8:                               ; =>This Loop Header: Depth=1
                                        ;     Child Loop BB96_12 Depth 2
                                        ;       Child Loop BB96_15 Depth 3
	v_mov_b32_e32 v9, 0
	v_mov_b32_e32 v11, 0
	;; [unrolled: 1-line block ×4, first 2 shown]
	s_andn2_b32 vcc_lo, exec_lo, s22
	s_cbranch_vccnz .LBB96_19
; %bb.9:                                ;   in Loop: Header=BB96_8 Depth=1
	v_mov_b32_e32 v9, 0
	v_mov_b32_e32 v11, 0
	s_waitcnt lgkmcnt(2)
	v_mov_b32_e32 v22, v18
	v_mov_b32_e32 v10, 0
	;; [unrolled: 1-line block ×4, first 2 shown]
	s_mov_b64 s[20:21], s[4:5]
	s_branch .LBB96_12
.LBB96_10:                              ;   in Loop: Header=BB96_12 Depth=2
	s_or_b32 exec_lo, exec_lo, s30
.LBB96_11:                              ;   in Loop: Header=BB96_12 Depth=2
	s_or_b32 exec_lo, exec_lo, s28
	s_add_u32 s20, s20, 1
	s_addc_u32 s21, s21, 0
	v_add_co_u32 v21, vcc_lo, v21, s27
	v_cmp_ge_i64_e64 s2, s[20:21], s[6:7]
	v_add_co_ci_u32_e64 v22, null, s26, v22, vcc_lo
	s_and_b32 vcc_lo, exec_lo, s2
	s_cbranch_vccnz .LBB96_19
.LBB96_12:                              ;   Parent Loop BB96_8 Depth=1
                                        ; =>  This Loop Header: Depth=2
                                        ;       Child Loop BB96_15 Depth 3
	s_and_saveexec_b32 s28, s0
	s_cbranch_execz .LBB96_11
; %bb.13:                               ;   in Loop: Header=BB96_12 Depth=2
	s_lshl_b64 s[30:31], s[20:21], 3
	s_mul_i32 s29, s20, s19
	s_add_u32 s30, s12, s30
	s_addc_u32 s31, s13, s31
	v_mov_b32_e32 v26, v16
	s_load_dwordx2 s[30:31], s[30:31], 0x0
	v_mov_b32_e32 v25, v15
	s_mul_i32 s33, s21, s18
	s_waitcnt lgkmcnt(0)
	s_sub_u32 s2, s30, s16
	s_subb_u32 s31, s31, 0
	v_mad_u64_u32 v[23:24], null, s8, s2, v[19:20]
	s_mul_i32 s2, s9, s2
	s_mul_i32 s31, s8, s31
	s_mul_hi_u32 s30, s20, s18
	s_add_i32 s29, s30, s29
	s_mov_b32 s30, 0
	v_add3_u32 v24, s31, s2, v24
	s_add_i32 s29, s29, s33
	s_mul_i32 s31, s20, s18
	s_branch .LBB96_15
.LBB96_14:                              ;   in Loop: Header=BB96_15 Depth=3
	v_lshlrev_b64 v[27:28], 3, v[27:28]
	v_add_co_u32 v27, vcc_lo, s14, v27
	v_add_co_ci_u32_e64 v28, null, s15, v28, vcc_lo
	v_add_co_u32 v25, vcc_lo, v25, 8
	global_load_dwordx4 v[31:34], v[23:24], off offset:-8
	global_load_dwordx2 v[27:28], v[27:28], off
	v_add_co_ci_u32_e64 v26, null, 0, v26, vcc_lo
	v_add_co_u32 v23, s2, 0x80, v23
	v_add_co_ci_u32_e64 v24, null, 0, v24, s2
	v_cmp_le_i64_e32 vcc_lo, s[18:19], v[25:26]
	s_or_b32 s30, vcc_lo, s30
	s_waitcnt vmcnt(1)
	v_fma_f64 v[9:10], v[31:32], 0, v[9:10]
	s_waitcnt vmcnt(0)
	v_fma_f64 v[11:12], v[27:28], v[31:32], v[11:12]
	v_fma_f64 v[9:10], v[27:28], v[33:34], v[9:10]
	;; [unrolled: 1-line block ×3, first 2 shown]
	s_andn2_b32 exec_lo, exec_lo, s30
	s_cbranch_execz .LBB96_10
.LBB96_15:                              ;   Parent Loop BB96_8 Depth=1
                                        ;     Parent Loop BB96_12 Depth=2
                                        ; =>    This Inner Loop Header: Depth=3
	s_and_b32 vcc_lo, exec_lo, s3
	s_cbranch_vccz .LBB96_17
; %bb.16:                               ;   in Loop: Header=BB96_15 Depth=3
	v_add_co_u32 v27, vcc_lo, v25, s31
	v_add_co_ci_u32_e64 v28, null, s29, v26, vcc_lo
	v_mul_lo_u32 v31, v27, s19
	v_mul_lo_u32 v32, v28, s18
	v_mad_u64_u32 v[27:28], null, v27, s18, v[13:14]
	v_add3_u32 v28, v32, v28, v31
	s_cbranch_execnz .LBB96_14
	s_branch .LBB96_18
.LBB96_17:                              ;   in Loop: Header=BB96_15 Depth=3
                                        ; implicit-def: $vgpr27_vgpr28
.LBB96_18:                              ;   in Loop: Header=BB96_15 Depth=3
	v_add_co_u32 v27, vcc_lo, v21, v25
	v_add_co_ci_u32_e64 v28, null, v22, v26, vcc_lo
	s_branch .LBB96_14
.LBB96_19:                              ;   in Loop: Header=BB96_8 Depth=1
	s_waitcnt lgkmcnt(3)
	ds_bpermute_b32 v21, v0, v11
	s_waitcnt lgkmcnt(3)
	ds_bpermute_b32 v22, v0, v12
	;; [unrolled: 2-line block ×4, first 2 shown]
	s_waitcnt lgkmcnt(2)
	v_add_f64 v[11:12], v[11:12], v[21:22]
	s_waitcnt lgkmcnt(0)
	v_add_f64 v[21:22], v[9:10], v[23:24]
	ds_bpermute_b32 v9, v29, v11
	ds_bpermute_b32 v10, v29, v12
	;; [unrolled: 1-line block ×4, first 2 shown]
	s_waitcnt lgkmcnt(2)
	v_add_f64 v[9:10], v[11:12], v[9:10]
	s_waitcnt lgkmcnt(0)
	v_add_f64 v[11:12], v[21:22], v[23:24]
	ds_bpermute_b32 v21, v30, v9
	ds_bpermute_b32 v22, v30, v10
	;; [unrolled: 1-line block ×4, first 2 shown]
	s_and_saveexec_b32 s2, s1
	s_cbranch_execz .LBB96_7
; %bb.20:                               ;   in Loop: Header=BB96_8 Depth=1
	s_waitcnt lgkmcnt(0)
	v_add_f64 v[11:12], v[11:12], v[23:24]
	v_add_f64 v[21:22], v[9:10], v[21:22]
	v_mul_f64 v[9:10], v[11:12], -v[3:4]
	v_mul_f64 v[11:12], v[1:2], v[11:12]
	v_fma_f64 v[9:10], v[1:2], v[21:22], v[9:10]
	v_fma_f64 v[11:12], v[3:4], v[21:22], v[11:12]
	v_lshlrev_b64 v[21:22], 4, v[13:14]
	s_and_saveexec_b32 s20, s23
	s_xor_b32 s20, exec_lo, s20
	s_cbranch_execz .LBB96_22
; %bb.21:                               ;   in Loop: Header=BB96_8 Depth=1
	v_add_co_u32 v21, vcc_lo, s24, v21
	v_add_co_ci_u32_e64 v22, null, s25, v22, vcc_lo
	global_store_dwordx4 v[21:22], v[9:12], off
                                        ; implicit-def: $vgpr21_vgpr22
                                        ; implicit-def: $vgpr9_vgpr10
.LBB96_22:                              ;   in Loop: Header=BB96_8 Depth=1
	s_andn2_saveexec_b32 s20, s20
	s_cbranch_execz .LBB96_7
; %bb.23:                               ;   in Loop: Header=BB96_8 Depth=1
	v_add_co_u32 v25, vcc_lo, s24, v21
	v_add_co_ci_u32_e64 v26, null, s25, v22, vcc_lo
	global_load_dwordx4 v[21:24], v[25:26], off
	s_waitcnt vmcnt(0)
	v_fma_f64 v[9:10], v[5:6], v[21:22], v[9:10]
	v_fma_f64 v[11:12], v[7:8], v[21:22], v[11:12]
	v_fma_f64 v[9:10], -v[7:8], v[23:24], v[9:10]
	v_fma_f64 v[11:12], v[5:6], v[23:24], v[11:12]
	global_store_dwordx4 v[25:26], v[9:12], off
	s_branch .LBB96_7
.LBB96_24:
	s_endpgm
	.section	.rodata,"a",@progbits
	.p2align	6, 0x0
	.amdhsa_kernel _ZN9rocsparseL22bsrxmvn_general_kernelILj64ELj8E21rocsparse_complex_numIdElldS2_S2_EEv20rocsparse_direction_NS_24const_host_device_scalarIT1_EET3_PKS7_PKT2_SC_S9_PKT4_S7_PKT5_S6_PT6_21rocsparse_index_base_b
		.amdhsa_group_segment_fixed_size 0
		.amdhsa_private_segment_fixed_size 0
		.amdhsa_kernarg_size 120
		.amdhsa_user_sgpr_count 6
		.amdhsa_user_sgpr_private_segment_buffer 1
		.amdhsa_user_sgpr_dispatch_ptr 0
		.amdhsa_user_sgpr_queue_ptr 0
		.amdhsa_user_sgpr_kernarg_segment_ptr 1
		.amdhsa_user_sgpr_dispatch_id 0
		.amdhsa_user_sgpr_flat_scratch_init 0
		.amdhsa_user_sgpr_private_segment_size 0
		.amdhsa_wavefront_size32 1
		.amdhsa_uses_dynamic_stack 0
		.amdhsa_system_sgpr_private_segment_wavefront_offset 0
		.amdhsa_system_sgpr_workgroup_id_x 1
		.amdhsa_system_sgpr_workgroup_id_y 0
		.amdhsa_system_sgpr_workgroup_id_z 0
		.amdhsa_system_sgpr_workgroup_info 0
		.amdhsa_system_vgpr_workitem_id 0
		.amdhsa_next_free_vgpr 35
		.amdhsa_next_free_sgpr 36
		.amdhsa_reserve_vcc 1
		.amdhsa_reserve_flat_scratch 0
		.amdhsa_float_round_mode_32 0
		.amdhsa_float_round_mode_16_64 0
		.amdhsa_float_denorm_mode_32 3
		.amdhsa_float_denorm_mode_16_64 3
		.amdhsa_dx10_clamp 1
		.amdhsa_ieee_mode 1
		.amdhsa_fp16_overflow 0
		.amdhsa_workgroup_processor_mode 1
		.amdhsa_memory_ordered 1
		.amdhsa_forward_progress 1
		.amdhsa_shared_vgpr_count 0
		.amdhsa_exception_fp_ieee_invalid_op 0
		.amdhsa_exception_fp_denorm_src 0
		.amdhsa_exception_fp_ieee_div_zero 0
		.amdhsa_exception_fp_ieee_overflow 0
		.amdhsa_exception_fp_ieee_underflow 0
		.amdhsa_exception_fp_ieee_inexact 0
		.amdhsa_exception_int_div_zero 0
	.end_amdhsa_kernel
	.section	.text._ZN9rocsparseL22bsrxmvn_general_kernelILj64ELj8E21rocsparse_complex_numIdElldS2_S2_EEv20rocsparse_direction_NS_24const_host_device_scalarIT1_EET3_PKS7_PKT2_SC_S9_PKT4_S7_PKT5_S6_PT6_21rocsparse_index_base_b,"axG",@progbits,_ZN9rocsparseL22bsrxmvn_general_kernelILj64ELj8E21rocsparse_complex_numIdElldS2_S2_EEv20rocsparse_direction_NS_24const_host_device_scalarIT1_EET3_PKS7_PKT2_SC_S9_PKT4_S7_PKT5_S6_PT6_21rocsparse_index_base_b,comdat
.Lfunc_end96:
	.size	_ZN9rocsparseL22bsrxmvn_general_kernelILj64ELj8E21rocsparse_complex_numIdElldS2_S2_EEv20rocsparse_direction_NS_24const_host_device_scalarIT1_EET3_PKS7_PKT2_SC_S9_PKT4_S7_PKT5_S6_PT6_21rocsparse_index_base_b, .Lfunc_end96-_ZN9rocsparseL22bsrxmvn_general_kernelILj64ELj8E21rocsparse_complex_numIdElldS2_S2_EEv20rocsparse_direction_NS_24const_host_device_scalarIT1_EET3_PKS7_PKT2_SC_S9_PKT4_S7_PKT5_S6_PT6_21rocsparse_index_base_b
                                        ; -- End function
	.set _ZN9rocsparseL22bsrxmvn_general_kernelILj64ELj8E21rocsparse_complex_numIdElldS2_S2_EEv20rocsparse_direction_NS_24const_host_device_scalarIT1_EET3_PKS7_PKT2_SC_S9_PKT4_S7_PKT5_S6_PT6_21rocsparse_index_base_b.num_vgpr, 35
	.set _ZN9rocsparseL22bsrxmvn_general_kernelILj64ELj8E21rocsparse_complex_numIdElldS2_S2_EEv20rocsparse_direction_NS_24const_host_device_scalarIT1_EET3_PKS7_PKT2_SC_S9_PKT4_S7_PKT5_S6_PT6_21rocsparse_index_base_b.num_agpr, 0
	.set _ZN9rocsparseL22bsrxmvn_general_kernelILj64ELj8E21rocsparse_complex_numIdElldS2_S2_EEv20rocsparse_direction_NS_24const_host_device_scalarIT1_EET3_PKS7_PKT2_SC_S9_PKT4_S7_PKT5_S6_PT6_21rocsparse_index_base_b.numbered_sgpr, 36
	.set _ZN9rocsparseL22bsrxmvn_general_kernelILj64ELj8E21rocsparse_complex_numIdElldS2_S2_EEv20rocsparse_direction_NS_24const_host_device_scalarIT1_EET3_PKS7_PKT2_SC_S9_PKT4_S7_PKT5_S6_PT6_21rocsparse_index_base_b.num_named_barrier, 0
	.set _ZN9rocsparseL22bsrxmvn_general_kernelILj64ELj8E21rocsparse_complex_numIdElldS2_S2_EEv20rocsparse_direction_NS_24const_host_device_scalarIT1_EET3_PKS7_PKT2_SC_S9_PKT4_S7_PKT5_S6_PT6_21rocsparse_index_base_b.private_seg_size, 0
	.set _ZN9rocsparseL22bsrxmvn_general_kernelILj64ELj8E21rocsparse_complex_numIdElldS2_S2_EEv20rocsparse_direction_NS_24const_host_device_scalarIT1_EET3_PKS7_PKT2_SC_S9_PKT4_S7_PKT5_S6_PT6_21rocsparse_index_base_b.uses_vcc, 1
	.set _ZN9rocsparseL22bsrxmvn_general_kernelILj64ELj8E21rocsparse_complex_numIdElldS2_S2_EEv20rocsparse_direction_NS_24const_host_device_scalarIT1_EET3_PKS7_PKT2_SC_S9_PKT4_S7_PKT5_S6_PT6_21rocsparse_index_base_b.uses_flat_scratch, 0
	.set _ZN9rocsparseL22bsrxmvn_general_kernelILj64ELj8E21rocsparse_complex_numIdElldS2_S2_EEv20rocsparse_direction_NS_24const_host_device_scalarIT1_EET3_PKS7_PKT2_SC_S9_PKT4_S7_PKT5_S6_PT6_21rocsparse_index_base_b.has_dyn_sized_stack, 0
	.set _ZN9rocsparseL22bsrxmvn_general_kernelILj64ELj8E21rocsparse_complex_numIdElldS2_S2_EEv20rocsparse_direction_NS_24const_host_device_scalarIT1_EET3_PKS7_PKT2_SC_S9_PKT4_S7_PKT5_S6_PT6_21rocsparse_index_base_b.has_recursion, 0
	.set _ZN9rocsparseL22bsrxmvn_general_kernelILj64ELj8E21rocsparse_complex_numIdElldS2_S2_EEv20rocsparse_direction_NS_24const_host_device_scalarIT1_EET3_PKS7_PKT2_SC_S9_PKT4_S7_PKT5_S6_PT6_21rocsparse_index_base_b.has_indirect_call, 0
	.section	.AMDGPU.csdata,"",@progbits
; Kernel info:
; codeLenInByte = 1516
; TotalNumSgprs: 38
; NumVgprs: 35
; ScratchSize: 0
; MemoryBound: 0
; FloatMode: 240
; IeeeMode: 1
; LDSByteSize: 0 bytes/workgroup (compile time only)
; SGPRBlocks: 0
; VGPRBlocks: 4
; NumSGPRsForWavesPerEU: 38
; NumVGPRsForWavesPerEU: 35
; Occupancy: 16
; WaveLimiterHint : 0
; COMPUTE_PGM_RSRC2:SCRATCH_EN: 0
; COMPUTE_PGM_RSRC2:USER_SGPR: 6
; COMPUTE_PGM_RSRC2:TRAP_HANDLER: 0
; COMPUTE_PGM_RSRC2:TGID_X_EN: 1
; COMPUTE_PGM_RSRC2:TGID_Y_EN: 0
; COMPUTE_PGM_RSRC2:TGID_Z_EN: 0
; COMPUTE_PGM_RSRC2:TIDIG_COMP_CNT: 0
	.section	.text._ZN9rocsparseL22bsrxmvn_general_kernelILj256ELj16E21rocsparse_complex_numIdElldS2_S2_EEv20rocsparse_direction_NS_24const_host_device_scalarIT1_EET3_PKS7_PKT2_SC_S9_PKT4_S7_PKT5_S6_PT6_21rocsparse_index_base_b,"axG",@progbits,_ZN9rocsparseL22bsrxmvn_general_kernelILj256ELj16E21rocsparse_complex_numIdElldS2_S2_EEv20rocsparse_direction_NS_24const_host_device_scalarIT1_EET3_PKS7_PKT2_SC_S9_PKT4_S7_PKT5_S6_PT6_21rocsparse_index_base_b,comdat
	.globl	_ZN9rocsparseL22bsrxmvn_general_kernelILj256ELj16E21rocsparse_complex_numIdElldS2_S2_EEv20rocsparse_direction_NS_24const_host_device_scalarIT1_EET3_PKS7_PKT2_SC_S9_PKT4_S7_PKT5_S6_PT6_21rocsparse_index_base_b ; -- Begin function _ZN9rocsparseL22bsrxmvn_general_kernelILj256ELj16E21rocsparse_complex_numIdElldS2_S2_EEv20rocsparse_direction_NS_24const_host_device_scalarIT1_EET3_PKS7_PKT2_SC_S9_PKT4_S7_PKT5_S6_PT6_21rocsparse_index_base_b
	.p2align	8
	.type	_ZN9rocsparseL22bsrxmvn_general_kernelILj256ELj16E21rocsparse_complex_numIdElldS2_S2_EEv20rocsparse_direction_NS_24const_host_device_scalarIT1_EET3_PKS7_PKT2_SC_S9_PKT4_S7_PKT5_S6_PT6_21rocsparse_index_base_b,@function
_ZN9rocsparseL22bsrxmvn_general_kernelILj256ELj16E21rocsparse_complex_numIdElldS2_S2_EEv20rocsparse_direction_NS_24const_host_device_scalarIT1_EET3_PKS7_PKT2_SC_S9_PKT4_S7_PKT5_S6_PT6_21rocsparse_index_base_b: ; @_ZN9rocsparseL22bsrxmvn_general_kernelILj256ELj16E21rocsparse_complex_numIdElldS2_S2_EEv20rocsparse_direction_NS_24const_host_device_scalarIT1_EET3_PKS7_PKT2_SC_S9_PKT4_S7_PKT5_S6_PT6_21rocsparse_index_base_b
; %bb.0:
	s_clause 0x1
	s_load_dwordx2 s[16:17], s[4:5], 0x70
	s_load_dwordx2 s[0:1], s[4:5], 0x8
	s_add_u32 s7, s4, 8
	s_addc_u32 s8, s5, 0
	s_add_u32 s9, s4, 0x58
	s_addc_u32 s10, s5, 0
	s_load_dwordx2 s[2:3], s[4:5], 0x58
	s_waitcnt lgkmcnt(0)
	s_bitcmp1_b32 s17, 0
	s_cselect_b32 s0, s7, s0
	s_cselect_b32 s1, s8, s1
	v_mov_b32_e32 v1, s0
	v_mov_b32_e32 v2, s1
	s_cselect_b32 s0, s9, s2
	s_cselect_b32 s1, s10, s3
	v_mov_b32_e32 v5, s0
	v_mov_b32_e32 v6, s1
	flat_load_dwordx4 v[1:4], v[1:2]
	flat_load_dwordx4 v[5:8], v[5:6]
	s_waitcnt vmcnt(1) lgkmcnt(1)
	v_cmp_eq_f64_e32 vcc_lo, 0, v[1:2]
	v_cmp_eq_f64_e64 s0, 0, v[3:4]
	s_and_b32 s2, vcc_lo, s0
	s_mov_b32 s0, -1
	s_and_saveexec_b32 s1, s2
	s_cbranch_execz .LBB97_2
; %bb.1:
	s_waitcnt vmcnt(0) lgkmcnt(0)
	v_cmp_neq_f64_e32 vcc_lo, 1.0, v[5:6]
	v_cmp_neq_f64_e64 s0, 0, v[7:8]
	s_or_b32 s0, vcc_lo, s0
	s_orn2_b32 s0, s0, exec_lo
.LBB97_2:
	s_or_b32 exec_lo, exec_lo, s1
	s_and_saveexec_b32 s1, s0
	s_cbranch_execz .LBB97_24
; %bb.3:
	s_load_dwordx2 s[0:1], s[4:5], 0x20
	s_mov_b32 s7, 0
	s_waitcnt lgkmcnt(0)
	s_cmp_eq_u64 s[0:1], 0
	s_cbranch_scc1 .LBB97_5
; %bb.4:
	s_lshl_b64 s[2:3], s[6:7], 3
	s_add_u32 s0, s0, s2
	s_addc_u32 s1, s1, s3
	s_load_dwordx2 s[0:1], s[0:1], 0x0
	s_waitcnt lgkmcnt(0)
	s_sub_u32 s6, s0, s16
	s_subb_u32 s7, s1, 0
.LBB97_5:
	s_load_dwordx2 s[18:19], s[4:5], 0x48
	v_lshrrev_b32_e32 v13, 4, v0
	v_mov_b32_e32 v14, 0
	s_waitcnt lgkmcnt(0)
	v_cmp_gt_i64_e32 vcc_lo, s[18:19], v[13:14]
	s_and_b32 exec_lo, exec_lo, vcc_lo
	s_cbranch_execz .LBB97_24
; %bb.6:
	s_clause 0x2
	s_load_dwordx8 s[8:15], s[4:5], 0x28
	s_load_dwordx2 s[20:21], s[4:5], 0x68
	s_load_dwordx2 s[22:23], s[4:5], 0x50
	s_lshl_b64 s[24:25], s[6:7], 3
	v_and_b32_e32 v15, 15, v0
	v_mbcnt_lo_u32_b32 v0, -1, 0
	s_mul_i32 s30, s6, s19
	s_mul_hi_u32 s31, s6, s18
	s_mul_i32 s28, s6, s18
	s_mul_i32 s33, s7, s18
	v_xor_b32_e32 v9, 8, v0
	v_xor_b32_e32 v10, 4, v0
	v_xor_b32_e32 v11, 2, v0
	v_xor_b32_e32 v12, 1, v0
	s_waitcnt vmcnt(0)
	v_cmp_eq_f64_e32 vcc_lo, 0, v[5:6]
	v_cmp_gt_i32_e64 s3, 32, v9
	v_cmp_eq_f64_e64 s2, 0, v[7:8]
	v_lshlrev_b32_e32 v17, 4, v15
	v_mov_b32_e32 v16, v14
	s_mul_i32 s34, s18, s19
	s_waitcnt lgkmcnt(0)
	s_add_u32 s26, s8, s24
	s_addc_u32 s27, s9, s25
	s_load_dword s29, s[4:5], 0x0
	s_load_dwordx2 s[8:9], s[26:27], 0x0
	v_cndmask_b32_e64 v18, v0, v9, s3
	v_cmp_gt_i32_e64 s3, 32, v10
	s_mul_hi_u32 s35, s18, s18
	v_cmp_gt_u64_e64 s0, s[18:19], v[15:16]
	v_cmp_eq_u32_e64 s1, 15, v15
	s_mov_b32 s17, 0
	v_cndmask_b32_e64 v19, v0, v10, s3
	v_cmp_gt_i32_e64 s3, 32, v11
	v_lshlrev_b32_e32 v29, 2, v19
	v_cndmask_b32_e64 v11, v0, v11, s3
	v_cmp_gt_i32_e64 s3, 32, v12
	v_lshlrev_b32_e32 v30, 2, v11
	v_cndmask_b32_e64 v12, v0, v12, s3
	s_waitcnt lgkmcnt(0)
	s_sub_u32 s4, s8, s16
	s_subb_u32 s5, s9, 0
	s_add_u32 s6, s26, 8
	s_addc_u32 s7, s27, 0
	s_add_u32 s24, s10, s24
	s_addc_u32 s25, s11, s25
	s_cmp_eq_u64 s[10:11], 0
	v_mad_u64_u32 v[9:10], null, s18, s4, v[13:14]
	s_cselect_b32 s7, s7, s25
	s_cselect_b32 s6, s6, s24
	s_mul_i32 s3, s19, s4
	s_load_dwordx2 s[10:11], s[6:7], 0x0
	s_mul_i32 s6, s18, s5
	v_lshlrev_b32_e32 v31, 2, v12
	v_add3_u32 v10, s6, s3, v10
	v_add_co_u32 v11, s3, s22, v17
	v_add_co_ci_u32_e64 v12, null, s23, 0, s3
	v_lshlrev_b32_e32 v0, 2, v18
	v_mul_lo_u32 v21, s19, v9
	v_mad_u64_u32 v[17:18], null, s18, v9, 0
	v_mul_lo_u32 v9, s18, v10
	v_add_co_u32 v19, s3, v11, 8
	v_add_co_ci_u32_e64 v20, null, 0, v12, s3
	s_mul_i32 s25, s18, s18
	s_waitcnt lgkmcnt(0)
	s_sub_u32 s6, s10, s16
	s_subb_u32 s7, s11, 0
	s_cmp_lg_u32 s29, 0
	v_add3_u32 v18, v18, v9, v21
	s_cselect_b32 s3, -1, 0
	s_add_i32 s22, s31, s30
	s_and_b32 s23, vcc_lo, s2
	s_add_i32 s29, s22, s33
	v_cmp_lt_i64_e64 s22, s[8:9], s[10:11]
	s_lshl_b64 s[8:9], s[28:29], 4
	s_add_u32 s20, s20, s8
	s_addc_u32 s21, s21, s9
	s_add_i32 s2, s35, s34
	s_lshl_b64 s[8:9], s[18:19], 4
	s_add_i32 s24, s2, s34
	s_branch .LBB97_8
.LBB97_7:                               ;   in Loop: Header=BB97_8 Depth=1
	s_or_b32 exec_lo, exec_lo, s2
	v_add_co_u32 v13, vcc_lo, v13, 16
	v_add_co_ci_u32_e64 v14, null, 0, v14, vcc_lo
	v_add_co_u32 v17, s2, v17, s8
	v_add_co_ci_u32_e64 v18, null, s9, v18, s2
	v_cmp_le_i64_e32 vcc_lo, s[18:19], v[13:14]
	s_or_b32 s17, vcc_lo, s17
	s_andn2_b32 exec_lo, exec_lo, s17
	s_cbranch_execz .LBB97_24
.LBB97_8:                               ; =>This Loop Header: Depth=1
                                        ;     Child Loop BB97_12 Depth 2
                                        ;       Child Loop BB97_15 Depth 3
	v_mov_b32_e32 v9, 0
	v_mov_b32_e32 v11, 0
	;; [unrolled: 1-line block ×4, first 2 shown]
	s_andn2_b32 vcc_lo, exec_lo, s22
	s_cbranch_vccnz .LBB97_19
; %bb.9:                                ;   in Loop: Header=BB97_8 Depth=1
	v_mov_b32_e32 v9, 0
	v_mov_b32_e32 v11, 0
	s_waitcnt lgkmcnt(2)
	v_mov_b32_e32 v22, v18
	v_mov_b32_e32 v10, 0
	;; [unrolled: 1-line block ×4, first 2 shown]
	s_mov_b64 s[10:11], s[4:5]
	s_branch .LBB97_12
.LBB97_10:                              ;   in Loop: Header=BB97_12 Depth=2
	s_or_b32 exec_lo, exec_lo, s28
.LBB97_11:                              ;   in Loop: Header=BB97_12 Depth=2
	s_or_b32 exec_lo, exec_lo, s26
	s_add_u32 s10, s10, 1
	s_addc_u32 s11, s11, 0
	v_add_co_u32 v21, vcc_lo, v21, s25
	v_cmp_ge_i64_e64 s2, s[10:11], s[6:7]
	v_add_co_ci_u32_e64 v22, null, s24, v22, vcc_lo
	s_and_b32 vcc_lo, exec_lo, s2
	s_cbranch_vccnz .LBB97_19
.LBB97_12:                              ;   Parent Loop BB97_8 Depth=1
                                        ; =>  This Loop Header: Depth=2
                                        ;       Child Loop BB97_15 Depth 3
	s_and_saveexec_b32 s26, s0
	s_cbranch_execz .LBB97_11
; %bb.13:                               ;   in Loop: Header=BB97_12 Depth=2
	s_lshl_b64 s[28:29], s[10:11], 3
	s_mul_i32 s27, s10, s19
	s_add_u32 s28, s12, s28
	s_addc_u32 s29, s13, s29
	v_mov_b32_e32 v26, v16
	s_load_dwordx2 s[28:29], s[28:29], 0x0
	v_mov_b32_e32 v25, v15
	s_mul_i32 s30, s11, s18
	s_waitcnt lgkmcnt(0)
	s_sub_u32 s2, s28, s16
	s_subb_u32 s29, s29, 0
	v_mad_u64_u32 v[23:24], null, s8, s2, v[19:20]
	s_mul_i32 s2, s9, s2
	s_mul_i32 s29, s8, s29
	s_mul_hi_u32 s28, s10, s18
	s_add_i32 s27, s28, s27
	s_mov_b32 s28, 0
	v_add3_u32 v24, s29, s2, v24
	s_add_i32 s27, s27, s30
	s_mul_i32 s29, s10, s18
	s_branch .LBB97_15
.LBB97_14:                              ;   in Loop: Header=BB97_15 Depth=3
	v_lshlrev_b64 v[27:28], 3, v[27:28]
	v_add_co_u32 v27, vcc_lo, s14, v27
	v_add_co_ci_u32_e64 v28, null, s15, v28, vcc_lo
	v_add_co_u32 v25, vcc_lo, v25, 16
	global_load_dwordx4 v[32:35], v[23:24], off offset:-8
	global_load_dwordx2 v[27:28], v[27:28], off
	v_add_co_ci_u32_e64 v26, null, 0, v26, vcc_lo
	v_add_co_u32 v23, s2, 0x100, v23
	v_add_co_ci_u32_e64 v24, null, 0, v24, s2
	v_cmp_le_i64_e32 vcc_lo, s[18:19], v[25:26]
	s_or_b32 s28, vcc_lo, s28
	s_waitcnt vmcnt(1)
	v_fma_f64 v[9:10], v[32:33], 0, v[9:10]
	s_waitcnt vmcnt(0)
	v_fma_f64 v[11:12], v[27:28], v[32:33], v[11:12]
	v_fma_f64 v[9:10], v[27:28], v[34:35], v[9:10]
	v_fma_f64 v[11:12], 0x80000000, v[34:35], v[11:12]
	s_andn2_b32 exec_lo, exec_lo, s28
	s_cbranch_execz .LBB97_10
.LBB97_15:                              ;   Parent Loop BB97_8 Depth=1
                                        ;     Parent Loop BB97_12 Depth=2
                                        ; =>    This Inner Loop Header: Depth=3
	s_and_b32 vcc_lo, exec_lo, s3
	s_cbranch_vccz .LBB97_17
; %bb.16:                               ;   in Loop: Header=BB97_15 Depth=3
	v_add_co_u32 v27, vcc_lo, v25, s29
	v_add_co_ci_u32_e64 v28, null, s27, v26, vcc_lo
	v_mul_lo_u32 v32, v27, s19
	v_mul_lo_u32 v33, v28, s18
	v_mad_u64_u32 v[27:28], null, v27, s18, v[13:14]
	v_add3_u32 v28, v33, v28, v32
	s_cbranch_execnz .LBB97_14
	s_branch .LBB97_18
.LBB97_17:                              ;   in Loop: Header=BB97_15 Depth=3
                                        ; implicit-def: $vgpr27_vgpr28
.LBB97_18:                              ;   in Loop: Header=BB97_15 Depth=3
	v_add_co_u32 v27, vcc_lo, v21, v25
	v_add_co_ci_u32_e64 v28, null, v22, v26, vcc_lo
	s_branch .LBB97_14
.LBB97_19:                              ;   in Loop: Header=BB97_8 Depth=1
	s_waitcnt lgkmcnt(3)
	ds_bpermute_b32 v21, v0, v11
	s_waitcnt lgkmcnt(3)
	ds_bpermute_b32 v22, v0, v12
	;; [unrolled: 2-line block ×4, first 2 shown]
	s_waitcnt lgkmcnt(2)
	v_add_f64 v[11:12], v[11:12], v[21:22]
	s_waitcnt lgkmcnt(0)
	v_add_f64 v[9:10], v[9:10], v[23:24]
	ds_bpermute_b32 v21, v29, v11
	ds_bpermute_b32 v22, v29, v12
	ds_bpermute_b32 v23, v29, v9
	ds_bpermute_b32 v24, v29, v10
	s_waitcnt lgkmcnt(2)
	v_add_f64 v[11:12], v[11:12], v[21:22]
	s_waitcnt lgkmcnt(0)
	v_add_f64 v[21:22], v[9:10], v[23:24]
	ds_bpermute_b32 v9, v30, v11
	ds_bpermute_b32 v10, v30, v12
	ds_bpermute_b32 v23, v30, v21
	ds_bpermute_b32 v24, v30, v22
	;; [unrolled: 8-line block ×3, first 2 shown]
	s_and_saveexec_b32 s2, s1
	s_cbranch_execz .LBB97_7
; %bb.20:                               ;   in Loop: Header=BB97_8 Depth=1
	s_waitcnt lgkmcnt(0)
	v_add_f64 v[11:12], v[11:12], v[23:24]
	v_add_f64 v[21:22], v[9:10], v[21:22]
	v_mul_f64 v[9:10], v[11:12], -v[3:4]
	v_mul_f64 v[11:12], v[1:2], v[11:12]
	v_fma_f64 v[9:10], v[1:2], v[21:22], v[9:10]
	v_fma_f64 v[11:12], v[3:4], v[21:22], v[11:12]
	v_lshlrev_b64 v[21:22], 4, v[13:14]
	s_and_saveexec_b32 s10, s23
	s_xor_b32 s10, exec_lo, s10
	s_cbranch_execz .LBB97_22
; %bb.21:                               ;   in Loop: Header=BB97_8 Depth=1
	v_add_co_u32 v21, vcc_lo, s20, v21
	v_add_co_ci_u32_e64 v22, null, s21, v22, vcc_lo
	global_store_dwordx4 v[21:22], v[9:12], off
                                        ; implicit-def: $vgpr21_vgpr22
                                        ; implicit-def: $vgpr9_vgpr10
.LBB97_22:                              ;   in Loop: Header=BB97_8 Depth=1
	s_andn2_saveexec_b32 s10, s10
	s_cbranch_execz .LBB97_7
; %bb.23:                               ;   in Loop: Header=BB97_8 Depth=1
	v_add_co_u32 v25, vcc_lo, s20, v21
	v_add_co_ci_u32_e64 v26, null, s21, v22, vcc_lo
	global_load_dwordx4 v[21:24], v[25:26], off
	s_waitcnt vmcnt(0)
	v_fma_f64 v[9:10], v[5:6], v[21:22], v[9:10]
	v_fma_f64 v[11:12], v[7:8], v[21:22], v[11:12]
	v_fma_f64 v[9:10], -v[7:8], v[23:24], v[9:10]
	v_fma_f64 v[11:12], v[5:6], v[23:24], v[11:12]
	global_store_dwordx4 v[25:26], v[9:12], off
	s_branch .LBB97_7
.LBB97_24:
	s_endpgm
	.section	.rodata,"a",@progbits
	.p2align	6, 0x0
	.amdhsa_kernel _ZN9rocsparseL22bsrxmvn_general_kernelILj256ELj16E21rocsparse_complex_numIdElldS2_S2_EEv20rocsparse_direction_NS_24const_host_device_scalarIT1_EET3_PKS7_PKT2_SC_S9_PKT4_S7_PKT5_S6_PT6_21rocsparse_index_base_b
		.amdhsa_group_segment_fixed_size 0
		.amdhsa_private_segment_fixed_size 0
		.amdhsa_kernarg_size 120
		.amdhsa_user_sgpr_count 6
		.amdhsa_user_sgpr_private_segment_buffer 1
		.amdhsa_user_sgpr_dispatch_ptr 0
		.amdhsa_user_sgpr_queue_ptr 0
		.amdhsa_user_sgpr_kernarg_segment_ptr 1
		.amdhsa_user_sgpr_dispatch_id 0
		.amdhsa_user_sgpr_flat_scratch_init 0
		.amdhsa_user_sgpr_private_segment_size 0
		.amdhsa_wavefront_size32 1
		.amdhsa_uses_dynamic_stack 0
		.amdhsa_system_sgpr_private_segment_wavefront_offset 0
		.amdhsa_system_sgpr_workgroup_id_x 1
		.amdhsa_system_sgpr_workgroup_id_y 0
		.amdhsa_system_sgpr_workgroup_id_z 0
		.amdhsa_system_sgpr_workgroup_info 0
		.amdhsa_system_vgpr_workitem_id 0
		.amdhsa_next_free_vgpr 36
		.amdhsa_next_free_sgpr 36
		.amdhsa_reserve_vcc 1
		.amdhsa_reserve_flat_scratch 0
		.amdhsa_float_round_mode_32 0
		.amdhsa_float_round_mode_16_64 0
		.amdhsa_float_denorm_mode_32 3
		.amdhsa_float_denorm_mode_16_64 3
		.amdhsa_dx10_clamp 1
		.amdhsa_ieee_mode 1
		.amdhsa_fp16_overflow 0
		.amdhsa_workgroup_processor_mode 1
		.amdhsa_memory_ordered 1
		.amdhsa_forward_progress 1
		.amdhsa_shared_vgpr_count 0
		.amdhsa_exception_fp_ieee_invalid_op 0
		.amdhsa_exception_fp_denorm_src 0
		.amdhsa_exception_fp_ieee_div_zero 0
		.amdhsa_exception_fp_ieee_overflow 0
		.amdhsa_exception_fp_ieee_underflow 0
		.amdhsa_exception_fp_ieee_inexact 0
		.amdhsa_exception_int_div_zero 0
	.end_amdhsa_kernel
	.section	.text._ZN9rocsparseL22bsrxmvn_general_kernelILj256ELj16E21rocsparse_complex_numIdElldS2_S2_EEv20rocsparse_direction_NS_24const_host_device_scalarIT1_EET3_PKS7_PKT2_SC_S9_PKT4_S7_PKT5_S6_PT6_21rocsparse_index_base_b,"axG",@progbits,_ZN9rocsparseL22bsrxmvn_general_kernelILj256ELj16E21rocsparse_complex_numIdElldS2_S2_EEv20rocsparse_direction_NS_24const_host_device_scalarIT1_EET3_PKS7_PKT2_SC_S9_PKT4_S7_PKT5_S6_PT6_21rocsparse_index_base_b,comdat
.Lfunc_end97:
	.size	_ZN9rocsparseL22bsrxmvn_general_kernelILj256ELj16E21rocsparse_complex_numIdElldS2_S2_EEv20rocsparse_direction_NS_24const_host_device_scalarIT1_EET3_PKS7_PKT2_SC_S9_PKT4_S7_PKT5_S6_PT6_21rocsparse_index_base_b, .Lfunc_end97-_ZN9rocsparseL22bsrxmvn_general_kernelILj256ELj16E21rocsparse_complex_numIdElldS2_S2_EEv20rocsparse_direction_NS_24const_host_device_scalarIT1_EET3_PKS7_PKT2_SC_S9_PKT4_S7_PKT5_S6_PT6_21rocsparse_index_base_b
                                        ; -- End function
	.set _ZN9rocsparseL22bsrxmvn_general_kernelILj256ELj16E21rocsparse_complex_numIdElldS2_S2_EEv20rocsparse_direction_NS_24const_host_device_scalarIT1_EET3_PKS7_PKT2_SC_S9_PKT4_S7_PKT5_S6_PT6_21rocsparse_index_base_b.num_vgpr, 36
	.set _ZN9rocsparseL22bsrxmvn_general_kernelILj256ELj16E21rocsparse_complex_numIdElldS2_S2_EEv20rocsparse_direction_NS_24const_host_device_scalarIT1_EET3_PKS7_PKT2_SC_S9_PKT4_S7_PKT5_S6_PT6_21rocsparse_index_base_b.num_agpr, 0
	.set _ZN9rocsparseL22bsrxmvn_general_kernelILj256ELj16E21rocsparse_complex_numIdElldS2_S2_EEv20rocsparse_direction_NS_24const_host_device_scalarIT1_EET3_PKS7_PKT2_SC_S9_PKT4_S7_PKT5_S6_PT6_21rocsparse_index_base_b.numbered_sgpr, 36
	.set _ZN9rocsparseL22bsrxmvn_general_kernelILj256ELj16E21rocsparse_complex_numIdElldS2_S2_EEv20rocsparse_direction_NS_24const_host_device_scalarIT1_EET3_PKS7_PKT2_SC_S9_PKT4_S7_PKT5_S6_PT6_21rocsparse_index_base_b.num_named_barrier, 0
	.set _ZN9rocsparseL22bsrxmvn_general_kernelILj256ELj16E21rocsparse_complex_numIdElldS2_S2_EEv20rocsparse_direction_NS_24const_host_device_scalarIT1_EET3_PKS7_PKT2_SC_S9_PKT4_S7_PKT5_S6_PT6_21rocsparse_index_base_b.private_seg_size, 0
	.set _ZN9rocsparseL22bsrxmvn_general_kernelILj256ELj16E21rocsparse_complex_numIdElldS2_S2_EEv20rocsparse_direction_NS_24const_host_device_scalarIT1_EET3_PKS7_PKT2_SC_S9_PKT4_S7_PKT5_S6_PT6_21rocsparse_index_base_b.uses_vcc, 1
	.set _ZN9rocsparseL22bsrxmvn_general_kernelILj256ELj16E21rocsparse_complex_numIdElldS2_S2_EEv20rocsparse_direction_NS_24const_host_device_scalarIT1_EET3_PKS7_PKT2_SC_S9_PKT4_S7_PKT5_S6_PT6_21rocsparse_index_base_b.uses_flat_scratch, 0
	.set _ZN9rocsparseL22bsrxmvn_general_kernelILj256ELj16E21rocsparse_complex_numIdElldS2_S2_EEv20rocsparse_direction_NS_24const_host_device_scalarIT1_EET3_PKS7_PKT2_SC_S9_PKT4_S7_PKT5_S6_PT6_21rocsparse_index_base_b.has_dyn_sized_stack, 0
	.set _ZN9rocsparseL22bsrxmvn_general_kernelILj256ELj16E21rocsparse_complex_numIdElldS2_S2_EEv20rocsparse_direction_NS_24const_host_device_scalarIT1_EET3_PKS7_PKT2_SC_S9_PKT4_S7_PKT5_S6_PT6_21rocsparse_index_base_b.has_recursion, 0
	.set _ZN9rocsparseL22bsrxmvn_general_kernelILj256ELj16E21rocsparse_complex_numIdElldS2_S2_EEv20rocsparse_direction_NS_24const_host_device_scalarIT1_EET3_PKS7_PKT2_SC_S9_PKT4_S7_PKT5_S6_PT6_21rocsparse_index_base_b.has_indirect_call, 0
	.section	.AMDGPU.csdata,"",@progbits
; Kernel info:
; codeLenInByte = 1592
; TotalNumSgprs: 38
; NumVgprs: 36
; ScratchSize: 0
; MemoryBound: 0
; FloatMode: 240
; IeeeMode: 1
; LDSByteSize: 0 bytes/workgroup (compile time only)
; SGPRBlocks: 0
; VGPRBlocks: 4
; NumSGPRsForWavesPerEU: 38
; NumVGPRsForWavesPerEU: 36
; Occupancy: 16
; WaveLimiterHint : 0
; COMPUTE_PGM_RSRC2:SCRATCH_EN: 0
; COMPUTE_PGM_RSRC2:USER_SGPR: 6
; COMPUTE_PGM_RSRC2:TRAP_HANDLER: 0
; COMPUTE_PGM_RSRC2:TGID_X_EN: 1
; COMPUTE_PGM_RSRC2:TGID_Y_EN: 0
; COMPUTE_PGM_RSRC2:TGID_Z_EN: 0
; COMPUTE_PGM_RSRC2:TIDIG_COMP_CNT: 0
	.section	.text._ZN9rocsparseL22bsrxmvn_general_kernelILj1024ELj32E21rocsparse_complex_numIdElldS2_S2_EEv20rocsparse_direction_NS_24const_host_device_scalarIT1_EET3_PKS7_PKT2_SC_S9_PKT4_S7_PKT5_S6_PT6_21rocsparse_index_base_b,"axG",@progbits,_ZN9rocsparseL22bsrxmvn_general_kernelILj1024ELj32E21rocsparse_complex_numIdElldS2_S2_EEv20rocsparse_direction_NS_24const_host_device_scalarIT1_EET3_PKS7_PKT2_SC_S9_PKT4_S7_PKT5_S6_PT6_21rocsparse_index_base_b,comdat
	.globl	_ZN9rocsparseL22bsrxmvn_general_kernelILj1024ELj32E21rocsparse_complex_numIdElldS2_S2_EEv20rocsparse_direction_NS_24const_host_device_scalarIT1_EET3_PKS7_PKT2_SC_S9_PKT4_S7_PKT5_S6_PT6_21rocsparse_index_base_b ; -- Begin function _ZN9rocsparseL22bsrxmvn_general_kernelILj1024ELj32E21rocsparse_complex_numIdElldS2_S2_EEv20rocsparse_direction_NS_24const_host_device_scalarIT1_EET3_PKS7_PKT2_SC_S9_PKT4_S7_PKT5_S6_PT6_21rocsparse_index_base_b
	.p2align	8
	.type	_ZN9rocsparseL22bsrxmvn_general_kernelILj1024ELj32E21rocsparse_complex_numIdElldS2_S2_EEv20rocsparse_direction_NS_24const_host_device_scalarIT1_EET3_PKS7_PKT2_SC_S9_PKT4_S7_PKT5_S6_PT6_21rocsparse_index_base_b,@function
_ZN9rocsparseL22bsrxmvn_general_kernelILj1024ELj32E21rocsparse_complex_numIdElldS2_S2_EEv20rocsparse_direction_NS_24const_host_device_scalarIT1_EET3_PKS7_PKT2_SC_S9_PKT4_S7_PKT5_S6_PT6_21rocsparse_index_base_b: ; @_ZN9rocsparseL22bsrxmvn_general_kernelILj1024ELj32E21rocsparse_complex_numIdElldS2_S2_EEv20rocsparse_direction_NS_24const_host_device_scalarIT1_EET3_PKS7_PKT2_SC_S9_PKT4_S7_PKT5_S6_PT6_21rocsparse_index_base_b
; %bb.0:
	s_clause 0x1
	s_load_dwordx2 s[16:17], s[4:5], 0x70
	s_load_dwordx2 s[0:1], s[4:5], 0x8
	s_add_u32 s7, s4, 8
	s_addc_u32 s8, s5, 0
	s_add_u32 s9, s4, 0x58
	s_addc_u32 s10, s5, 0
	s_load_dwordx2 s[2:3], s[4:5], 0x58
	s_waitcnt lgkmcnt(0)
	s_bitcmp1_b32 s17, 0
	s_cselect_b32 s0, s7, s0
	s_cselect_b32 s1, s8, s1
	v_mov_b32_e32 v1, s0
	v_mov_b32_e32 v2, s1
	s_cselect_b32 s0, s9, s2
	s_cselect_b32 s1, s10, s3
	v_mov_b32_e32 v5, s0
	v_mov_b32_e32 v6, s1
	flat_load_dwordx4 v[1:4], v[1:2]
	flat_load_dwordx4 v[5:8], v[5:6]
	s_waitcnt vmcnt(1) lgkmcnt(1)
	v_cmp_eq_f64_e32 vcc_lo, 0, v[1:2]
	v_cmp_eq_f64_e64 s0, 0, v[3:4]
	s_and_b32 s2, vcc_lo, s0
	s_mov_b32 s0, -1
	s_and_saveexec_b32 s1, s2
	s_cbranch_execz .LBB98_2
; %bb.1:
	s_waitcnt vmcnt(0) lgkmcnt(0)
	v_cmp_neq_f64_e32 vcc_lo, 1.0, v[5:6]
	v_cmp_neq_f64_e64 s0, 0, v[7:8]
	s_or_b32 s0, vcc_lo, s0
	s_orn2_b32 s0, s0, exec_lo
.LBB98_2:
	s_or_b32 exec_lo, exec_lo, s1
	s_and_saveexec_b32 s1, s0
	s_cbranch_execz .LBB98_24
; %bb.3:
	s_load_dwordx2 s[0:1], s[4:5], 0x20
	s_mov_b32 s7, 0
	s_waitcnt lgkmcnt(0)
	s_cmp_eq_u64 s[0:1], 0
	s_cbranch_scc1 .LBB98_5
; %bb.4:
	s_lshl_b64 s[2:3], s[6:7], 3
	s_add_u32 s0, s0, s2
	s_addc_u32 s1, s1, s3
	s_load_dwordx2 s[0:1], s[0:1], 0x0
	s_waitcnt lgkmcnt(0)
	s_sub_u32 s6, s0, s16
	s_subb_u32 s7, s1, 0
.LBB98_5:
	s_load_dwordx2 s[18:19], s[4:5], 0x48
	v_lshrrev_b32_e32 v13, 5, v0
	v_mov_b32_e32 v14, 0
	s_waitcnt lgkmcnt(0)
	v_cmp_gt_i64_e32 vcc_lo, s[18:19], v[13:14]
	s_and_b32 exec_lo, exec_lo, vcc_lo
	s_cbranch_execz .LBB98_24
; %bb.6:
	s_clause 0x2
	s_load_dwordx8 s[8:15], s[4:5], 0x28
	s_load_dwordx2 s[20:21], s[4:5], 0x68
	s_load_dwordx2 s[22:23], s[4:5], 0x50
	s_lshl_b64 s[24:25], s[6:7], 3
	v_and_b32_e32 v15, 31, v0
	v_mbcnt_lo_u32_b32 v0, -1, 0
	s_load_dword s29, s[4:5], 0x0
	s_mul_i32 s30, s6, s19
	s_mul_hi_u32 s31, s6, s18
	s_mul_i32 s28, s6, s18
	v_xor_b32_e32 v9, 16, v0
	v_xor_b32_e32 v10, 8, v0
	s_mul_i32 s33, s7, s18
	v_xor_b32_e32 v11, 4, v0
	v_xor_b32_e32 v12, 2, v0
	v_cmp_gt_i32_e64 s3, 32, v9
	v_xor_b32_e32 v17, 1, v0
	s_waitcnt vmcnt(0)
	v_cmp_eq_f64_e32 vcc_lo, 0, v[5:6]
	v_cmp_eq_f64_e64 s2, 0, v[7:8]
	v_lshlrev_b32_e32 v18, 4, v15
	s_waitcnt lgkmcnt(0)
	s_add_u32 s8, s8, s24
	s_addc_u32 s9, s9, s25
	v_cndmask_b32_e64 v19, v0, v9, s3
	s_load_dwordx2 s[26:27], s[8:9], 0x0
	v_cmp_gt_i32_e64 s3, 32, v10
	v_mov_b32_e32 v16, v14
	s_mul_i32 s34, s18, s19
	s_mul_hi_u32 s35, s18, s18
	v_cmp_eq_u32_e64 s1, 31, v15
	v_cndmask_b32_e64 v20, v0, v10, s3
	v_cmp_gt_i32_e64 s3, 32, v11
	v_cmp_gt_u64_e64 s0, s[18:19], v[15:16]
	s_mov_b32 s17, 0
	v_lshlrev_b32_e32 v29, 2, v20
	v_cndmask_b32_e64 v11, v0, v11, s3
	v_cmp_gt_i32_e64 s3, 32, v12
	v_lshlrev_b32_e32 v30, 2, v11
	v_cndmask_b32_e64 v12, v0, v12, s3
	v_cmp_gt_i32_e64 s3, 32, v17
	s_waitcnt lgkmcnt(0)
	s_sub_u32 s4, s26, s16
	s_subb_u32 s5, s27, 0
	s_add_u32 s6, s8, 8
	s_addc_u32 s7, s9, 0
	s_add_u32 s8, s10, s24
	s_addc_u32 s9, s11, s25
	s_cmp_eq_u64 s[10:11], 0
	v_mad_u64_u32 v[9:10], null, s18, s4, v[13:14]
	s_cselect_b32 s7, s7, s9
	s_cselect_b32 s6, s6, s8
	v_cndmask_b32_e64 v17, v0, v17, s3
	s_load_dwordx2 s[8:9], s[6:7], 0x0
	s_mul_i32 s3, s19, s4
	s_mul_i32 s6, s18, s5
	v_lshlrev_b32_e32 v31, 2, v12
	v_add3_u32 v10, s6, s3, v10
	v_add_co_u32 v11, s3, s22, v18
	v_add_co_ci_u32_e64 v12, null, s23, 0, s3
	v_lshlrev_b32_e32 v0, 2, v19
	v_lshlrev_b32_e32 v32, 2, v17
	v_mul_lo_u32 v21, s19, v9
	v_mad_u64_u32 v[17:18], null, s18, v9, 0
	v_mul_lo_u32 v9, s18, v10
	v_add_co_u32 v19, s3, v11, 8
	v_add_co_ci_u32_e64 v20, null, 0, v12, s3
	s_waitcnt lgkmcnt(0)
	s_sub_u32 s6, s8, s16
	s_subb_u32 s7, s9, 0
	s_cmp_lg_u32 s29, 0
	v_cmp_lt_i64_e64 s22, s[26:27], s[8:9]
	s_cselect_b32 s3, -1, 0
	s_add_i32 s10, s31, s30
	s_and_b32 s23, vcc_lo, s2
	s_add_i32 s29, s10, s33
	v_add3_u32 v18, v18, v9, v21
	s_lshl_b64 s[8:9], s[28:29], 4
	s_mul_i32 s27, s18, s18
	s_add_u32 s24, s20, s8
	s_addc_u32 s25, s21, s9
	s_add_i32 s2, s35, s34
	s_lshl_b64 s[8:9], s[18:19], 4
	s_lshl_b64 s[10:11], s[18:19], 5
	s_add_i32 s26, s2, s34
	s_branch .LBB98_8
.LBB98_7:                               ;   in Loop: Header=BB98_8 Depth=1
	s_or_b32 exec_lo, exec_lo, s2
	v_add_co_u32 v13, vcc_lo, v13, 32
	v_add_co_ci_u32_e64 v14, null, 0, v14, vcc_lo
	v_add_co_u32 v17, s2, v17, s10
	v_add_co_ci_u32_e64 v18, null, s11, v18, s2
	v_cmp_le_i64_e32 vcc_lo, s[18:19], v[13:14]
	s_or_b32 s17, vcc_lo, s17
	s_andn2_b32 exec_lo, exec_lo, s17
	s_cbranch_execz .LBB98_24
.LBB98_8:                               ; =>This Loop Header: Depth=1
                                        ;     Child Loop BB98_12 Depth 2
                                        ;       Child Loop BB98_15 Depth 3
	v_mov_b32_e32 v9, 0
	v_mov_b32_e32 v11, 0
	;; [unrolled: 1-line block ×4, first 2 shown]
	s_andn2_b32 vcc_lo, exec_lo, s22
	s_cbranch_vccnz .LBB98_19
; %bb.9:                                ;   in Loop: Header=BB98_8 Depth=1
	v_mov_b32_e32 v9, 0
	v_mov_b32_e32 v11, 0
	s_waitcnt lgkmcnt(2)
	v_mov_b32_e32 v22, v18
	v_mov_b32_e32 v10, 0
	v_mov_b32_e32 v12, 0
	v_mov_b32_e32 v21, v17
	s_mov_b64 s[20:21], s[4:5]
	s_branch .LBB98_12
.LBB98_10:                              ;   in Loop: Header=BB98_12 Depth=2
	s_or_b32 exec_lo, exec_lo, s30
.LBB98_11:                              ;   in Loop: Header=BB98_12 Depth=2
	s_or_b32 exec_lo, exec_lo, s28
	s_add_u32 s20, s20, 1
	s_addc_u32 s21, s21, 0
	v_add_co_u32 v21, vcc_lo, v21, s27
	v_cmp_ge_i64_e64 s2, s[20:21], s[6:7]
	v_add_co_ci_u32_e64 v22, null, s26, v22, vcc_lo
	s_and_b32 vcc_lo, exec_lo, s2
	s_cbranch_vccnz .LBB98_19
.LBB98_12:                              ;   Parent Loop BB98_8 Depth=1
                                        ; =>  This Loop Header: Depth=2
                                        ;       Child Loop BB98_15 Depth 3
	s_and_saveexec_b32 s28, s0
	s_cbranch_execz .LBB98_11
; %bb.13:                               ;   in Loop: Header=BB98_12 Depth=2
	s_lshl_b64 s[30:31], s[20:21], 3
	s_mul_i32 s29, s20, s19
	s_add_u32 s30, s12, s30
	s_addc_u32 s31, s13, s31
	v_mov_b32_e32 v26, v16
	s_load_dwordx2 s[30:31], s[30:31], 0x0
	v_mov_b32_e32 v25, v15
	s_mul_i32 s33, s21, s18
	s_waitcnt lgkmcnt(0)
	s_sub_u32 s2, s30, s16
	s_subb_u32 s31, s31, 0
	v_mad_u64_u32 v[23:24], null, s8, s2, v[19:20]
	s_mul_i32 s2, s9, s2
	s_mul_i32 s31, s8, s31
	s_mul_hi_u32 s30, s20, s18
	s_add_i32 s29, s30, s29
	s_mov_b32 s30, 0
	v_add3_u32 v24, s31, s2, v24
	s_add_i32 s29, s29, s33
	s_mul_i32 s31, s20, s18
	s_branch .LBB98_15
.LBB98_14:                              ;   in Loop: Header=BB98_15 Depth=3
	v_lshlrev_b64 v[27:28], 3, v[27:28]
	v_add_co_u32 v27, vcc_lo, s14, v27
	v_add_co_ci_u32_e64 v28, null, s15, v28, vcc_lo
	v_add_co_u32 v25, vcc_lo, v25, 32
	global_load_dwordx4 v[33:36], v[23:24], off offset:-8
	global_load_dwordx2 v[27:28], v[27:28], off
	v_add_co_ci_u32_e64 v26, null, 0, v26, vcc_lo
	v_add_co_u32 v23, s2, 0x200, v23
	v_add_co_ci_u32_e64 v24, null, 0, v24, s2
	v_cmp_le_i64_e32 vcc_lo, s[18:19], v[25:26]
	s_or_b32 s30, vcc_lo, s30
	s_waitcnt vmcnt(1)
	v_fma_f64 v[9:10], v[33:34], 0, v[9:10]
	s_waitcnt vmcnt(0)
	v_fma_f64 v[11:12], v[27:28], v[33:34], v[11:12]
	v_fma_f64 v[9:10], v[27:28], v[35:36], v[9:10]
	;; [unrolled: 1-line block ×3, first 2 shown]
	s_andn2_b32 exec_lo, exec_lo, s30
	s_cbranch_execz .LBB98_10
.LBB98_15:                              ;   Parent Loop BB98_8 Depth=1
                                        ;     Parent Loop BB98_12 Depth=2
                                        ; =>    This Inner Loop Header: Depth=3
	s_and_b32 vcc_lo, exec_lo, s3
	s_cbranch_vccz .LBB98_17
; %bb.16:                               ;   in Loop: Header=BB98_15 Depth=3
	v_add_co_u32 v27, vcc_lo, v25, s31
	v_add_co_ci_u32_e64 v28, null, s29, v26, vcc_lo
	v_mul_lo_u32 v33, v27, s19
	v_mul_lo_u32 v34, v28, s18
	v_mad_u64_u32 v[27:28], null, v27, s18, v[13:14]
	v_add3_u32 v28, v34, v28, v33
	s_cbranch_execnz .LBB98_14
	s_branch .LBB98_18
.LBB98_17:                              ;   in Loop: Header=BB98_15 Depth=3
                                        ; implicit-def: $vgpr27_vgpr28
.LBB98_18:                              ;   in Loop: Header=BB98_15 Depth=3
	v_add_co_u32 v27, vcc_lo, v21, v25
	v_add_co_ci_u32_e64 v28, null, v22, v26, vcc_lo
	s_branch .LBB98_14
.LBB98_19:                              ;   in Loop: Header=BB98_8 Depth=1
	s_waitcnt lgkmcnt(3)
	ds_bpermute_b32 v21, v0, v11
	s_waitcnt lgkmcnt(3)
	ds_bpermute_b32 v22, v0, v12
	;; [unrolled: 2-line block ×4, first 2 shown]
	s_waitcnt lgkmcnt(2)
	v_add_f64 v[11:12], v[11:12], v[21:22]
	s_waitcnt lgkmcnt(0)
	v_add_f64 v[9:10], v[9:10], v[23:24]
	ds_bpermute_b32 v21, v29, v11
	ds_bpermute_b32 v22, v29, v12
	ds_bpermute_b32 v23, v29, v9
	ds_bpermute_b32 v24, v29, v10
	s_waitcnt lgkmcnt(2)
	v_add_f64 v[11:12], v[11:12], v[21:22]
	s_waitcnt lgkmcnt(0)
	v_add_f64 v[9:10], v[9:10], v[23:24]
	ds_bpermute_b32 v21, v30, v11
	ds_bpermute_b32 v22, v30, v12
	ds_bpermute_b32 v23, v30, v9
	ds_bpermute_b32 v24, v30, v10
	;; [unrolled: 8-line block ×4, first 2 shown]
	s_and_saveexec_b32 s2, s1
	s_cbranch_execz .LBB98_7
; %bb.20:                               ;   in Loop: Header=BB98_8 Depth=1
	s_waitcnt lgkmcnt(0)
	v_add_f64 v[11:12], v[11:12], v[23:24]
	v_add_f64 v[21:22], v[9:10], v[21:22]
	v_mul_f64 v[9:10], v[11:12], -v[3:4]
	v_mul_f64 v[11:12], v[1:2], v[11:12]
	v_fma_f64 v[9:10], v[1:2], v[21:22], v[9:10]
	v_fma_f64 v[11:12], v[3:4], v[21:22], v[11:12]
	v_lshlrev_b64 v[21:22], 4, v[13:14]
	s_and_saveexec_b32 s20, s23
	s_xor_b32 s20, exec_lo, s20
	s_cbranch_execz .LBB98_22
; %bb.21:                               ;   in Loop: Header=BB98_8 Depth=1
	v_add_co_u32 v21, vcc_lo, s24, v21
	v_add_co_ci_u32_e64 v22, null, s25, v22, vcc_lo
	global_store_dwordx4 v[21:22], v[9:12], off
                                        ; implicit-def: $vgpr21_vgpr22
                                        ; implicit-def: $vgpr9_vgpr10
.LBB98_22:                              ;   in Loop: Header=BB98_8 Depth=1
	s_andn2_saveexec_b32 s20, s20
	s_cbranch_execz .LBB98_7
; %bb.23:                               ;   in Loop: Header=BB98_8 Depth=1
	v_add_co_u32 v25, vcc_lo, s24, v21
	v_add_co_ci_u32_e64 v26, null, s25, v22, vcc_lo
	global_load_dwordx4 v[21:24], v[25:26], off
	s_waitcnt vmcnt(0)
	v_fma_f64 v[9:10], v[5:6], v[21:22], v[9:10]
	v_fma_f64 v[11:12], v[7:8], v[21:22], v[11:12]
	v_fma_f64 v[9:10], -v[7:8], v[23:24], v[9:10]
	v_fma_f64 v[11:12], v[5:6], v[23:24], v[11:12]
	global_store_dwordx4 v[25:26], v[9:12], off
	s_branch .LBB98_7
.LBB98_24:
	s_endpgm
	.section	.rodata,"a",@progbits
	.p2align	6, 0x0
	.amdhsa_kernel _ZN9rocsparseL22bsrxmvn_general_kernelILj1024ELj32E21rocsparse_complex_numIdElldS2_S2_EEv20rocsparse_direction_NS_24const_host_device_scalarIT1_EET3_PKS7_PKT2_SC_S9_PKT4_S7_PKT5_S6_PT6_21rocsparse_index_base_b
		.amdhsa_group_segment_fixed_size 0
		.amdhsa_private_segment_fixed_size 0
		.amdhsa_kernarg_size 120
		.amdhsa_user_sgpr_count 6
		.amdhsa_user_sgpr_private_segment_buffer 1
		.amdhsa_user_sgpr_dispatch_ptr 0
		.amdhsa_user_sgpr_queue_ptr 0
		.amdhsa_user_sgpr_kernarg_segment_ptr 1
		.amdhsa_user_sgpr_dispatch_id 0
		.amdhsa_user_sgpr_flat_scratch_init 0
		.amdhsa_user_sgpr_private_segment_size 0
		.amdhsa_wavefront_size32 1
		.amdhsa_uses_dynamic_stack 0
		.amdhsa_system_sgpr_private_segment_wavefront_offset 0
		.amdhsa_system_sgpr_workgroup_id_x 1
		.amdhsa_system_sgpr_workgroup_id_y 0
		.amdhsa_system_sgpr_workgroup_id_z 0
		.amdhsa_system_sgpr_workgroup_info 0
		.amdhsa_system_vgpr_workitem_id 0
		.amdhsa_next_free_vgpr 37
		.amdhsa_next_free_sgpr 36
		.amdhsa_reserve_vcc 1
		.amdhsa_reserve_flat_scratch 0
		.amdhsa_float_round_mode_32 0
		.amdhsa_float_round_mode_16_64 0
		.amdhsa_float_denorm_mode_32 3
		.amdhsa_float_denorm_mode_16_64 3
		.amdhsa_dx10_clamp 1
		.amdhsa_ieee_mode 1
		.amdhsa_fp16_overflow 0
		.amdhsa_workgroup_processor_mode 1
		.amdhsa_memory_ordered 1
		.amdhsa_forward_progress 1
		.amdhsa_shared_vgpr_count 0
		.amdhsa_exception_fp_ieee_invalid_op 0
		.amdhsa_exception_fp_denorm_src 0
		.amdhsa_exception_fp_ieee_div_zero 0
		.amdhsa_exception_fp_ieee_overflow 0
		.amdhsa_exception_fp_ieee_underflow 0
		.amdhsa_exception_fp_ieee_inexact 0
		.amdhsa_exception_int_div_zero 0
	.end_amdhsa_kernel
	.section	.text._ZN9rocsparseL22bsrxmvn_general_kernelILj1024ELj32E21rocsparse_complex_numIdElldS2_S2_EEv20rocsparse_direction_NS_24const_host_device_scalarIT1_EET3_PKS7_PKT2_SC_S9_PKT4_S7_PKT5_S6_PT6_21rocsparse_index_base_b,"axG",@progbits,_ZN9rocsparseL22bsrxmvn_general_kernelILj1024ELj32E21rocsparse_complex_numIdElldS2_S2_EEv20rocsparse_direction_NS_24const_host_device_scalarIT1_EET3_PKS7_PKT2_SC_S9_PKT4_S7_PKT5_S6_PT6_21rocsparse_index_base_b,comdat
.Lfunc_end98:
	.size	_ZN9rocsparseL22bsrxmvn_general_kernelILj1024ELj32E21rocsparse_complex_numIdElldS2_S2_EEv20rocsparse_direction_NS_24const_host_device_scalarIT1_EET3_PKS7_PKT2_SC_S9_PKT4_S7_PKT5_S6_PT6_21rocsparse_index_base_b, .Lfunc_end98-_ZN9rocsparseL22bsrxmvn_general_kernelILj1024ELj32E21rocsparse_complex_numIdElldS2_S2_EEv20rocsparse_direction_NS_24const_host_device_scalarIT1_EET3_PKS7_PKT2_SC_S9_PKT4_S7_PKT5_S6_PT6_21rocsparse_index_base_b
                                        ; -- End function
	.set _ZN9rocsparseL22bsrxmvn_general_kernelILj1024ELj32E21rocsparse_complex_numIdElldS2_S2_EEv20rocsparse_direction_NS_24const_host_device_scalarIT1_EET3_PKS7_PKT2_SC_S9_PKT4_S7_PKT5_S6_PT6_21rocsparse_index_base_b.num_vgpr, 37
	.set _ZN9rocsparseL22bsrxmvn_general_kernelILj1024ELj32E21rocsparse_complex_numIdElldS2_S2_EEv20rocsparse_direction_NS_24const_host_device_scalarIT1_EET3_PKS7_PKT2_SC_S9_PKT4_S7_PKT5_S6_PT6_21rocsparse_index_base_b.num_agpr, 0
	.set _ZN9rocsparseL22bsrxmvn_general_kernelILj1024ELj32E21rocsparse_complex_numIdElldS2_S2_EEv20rocsparse_direction_NS_24const_host_device_scalarIT1_EET3_PKS7_PKT2_SC_S9_PKT4_S7_PKT5_S6_PT6_21rocsparse_index_base_b.numbered_sgpr, 36
	.set _ZN9rocsparseL22bsrxmvn_general_kernelILj1024ELj32E21rocsparse_complex_numIdElldS2_S2_EEv20rocsparse_direction_NS_24const_host_device_scalarIT1_EET3_PKS7_PKT2_SC_S9_PKT4_S7_PKT5_S6_PT6_21rocsparse_index_base_b.num_named_barrier, 0
	.set _ZN9rocsparseL22bsrxmvn_general_kernelILj1024ELj32E21rocsparse_complex_numIdElldS2_S2_EEv20rocsparse_direction_NS_24const_host_device_scalarIT1_EET3_PKS7_PKT2_SC_S9_PKT4_S7_PKT5_S6_PT6_21rocsparse_index_base_b.private_seg_size, 0
	.set _ZN9rocsparseL22bsrxmvn_general_kernelILj1024ELj32E21rocsparse_complex_numIdElldS2_S2_EEv20rocsparse_direction_NS_24const_host_device_scalarIT1_EET3_PKS7_PKT2_SC_S9_PKT4_S7_PKT5_S6_PT6_21rocsparse_index_base_b.uses_vcc, 1
	.set _ZN9rocsparseL22bsrxmvn_general_kernelILj1024ELj32E21rocsparse_complex_numIdElldS2_S2_EEv20rocsparse_direction_NS_24const_host_device_scalarIT1_EET3_PKS7_PKT2_SC_S9_PKT4_S7_PKT5_S6_PT6_21rocsparse_index_base_b.uses_flat_scratch, 0
	.set _ZN9rocsparseL22bsrxmvn_general_kernelILj1024ELj32E21rocsparse_complex_numIdElldS2_S2_EEv20rocsparse_direction_NS_24const_host_device_scalarIT1_EET3_PKS7_PKT2_SC_S9_PKT4_S7_PKT5_S6_PT6_21rocsparse_index_base_b.has_dyn_sized_stack, 0
	.set _ZN9rocsparseL22bsrxmvn_general_kernelILj1024ELj32E21rocsparse_complex_numIdElldS2_S2_EEv20rocsparse_direction_NS_24const_host_device_scalarIT1_EET3_PKS7_PKT2_SC_S9_PKT4_S7_PKT5_S6_PT6_21rocsparse_index_base_b.has_recursion, 0
	.set _ZN9rocsparseL22bsrxmvn_general_kernelILj1024ELj32E21rocsparse_complex_numIdElldS2_S2_EEv20rocsparse_direction_NS_24const_host_device_scalarIT1_EET3_PKS7_PKT2_SC_S9_PKT4_S7_PKT5_S6_PT6_21rocsparse_index_base_b.has_indirect_call, 0
	.section	.AMDGPU.csdata,"",@progbits
; Kernel info:
; codeLenInByte = 1676
; TotalNumSgprs: 38
; NumVgprs: 37
; ScratchSize: 0
; MemoryBound: 0
; FloatMode: 240
; IeeeMode: 1
; LDSByteSize: 0 bytes/workgroup (compile time only)
; SGPRBlocks: 0
; VGPRBlocks: 4
; NumSGPRsForWavesPerEU: 38
; NumVGPRsForWavesPerEU: 37
; Occupancy: 16
; WaveLimiterHint : 0
; COMPUTE_PGM_RSRC2:SCRATCH_EN: 0
; COMPUTE_PGM_RSRC2:USER_SGPR: 6
; COMPUTE_PGM_RSRC2:TRAP_HANDLER: 0
; COMPUTE_PGM_RSRC2:TGID_X_EN: 1
; COMPUTE_PGM_RSRC2:TGID_Y_EN: 0
; COMPUTE_PGM_RSRC2:TGID_Z_EN: 0
; COMPUTE_PGM_RSRC2:TIDIG_COMP_CNT: 0
	.section	.text._ZN9rocsparseL22bsrxmvn_general_kernelILj64ELj8E21rocsparse_complex_numIdEiiS1_IfES2_S2_EEv20rocsparse_direction_NS_24const_host_device_scalarIT1_EET3_PKS8_PKT2_SD_SA_PKT4_S8_PKT5_S7_PT6_21rocsparse_index_base_b,"axG",@progbits,_ZN9rocsparseL22bsrxmvn_general_kernelILj64ELj8E21rocsparse_complex_numIdEiiS1_IfES2_S2_EEv20rocsparse_direction_NS_24const_host_device_scalarIT1_EET3_PKS8_PKT2_SD_SA_PKT4_S8_PKT5_S7_PT6_21rocsparse_index_base_b,comdat
	.globl	_ZN9rocsparseL22bsrxmvn_general_kernelILj64ELj8E21rocsparse_complex_numIdEiiS1_IfES2_S2_EEv20rocsparse_direction_NS_24const_host_device_scalarIT1_EET3_PKS8_PKT2_SD_SA_PKT4_S8_PKT5_S7_PT6_21rocsparse_index_base_b ; -- Begin function _ZN9rocsparseL22bsrxmvn_general_kernelILj64ELj8E21rocsparse_complex_numIdEiiS1_IfES2_S2_EEv20rocsparse_direction_NS_24const_host_device_scalarIT1_EET3_PKS8_PKT2_SD_SA_PKT4_S8_PKT5_S7_PT6_21rocsparse_index_base_b
	.p2align	8
	.type	_ZN9rocsparseL22bsrxmvn_general_kernelILj64ELj8E21rocsparse_complex_numIdEiiS1_IfES2_S2_EEv20rocsparse_direction_NS_24const_host_device_scalarIT1_EET3_PKS8_PKT2_SD_SA_PKT4_S8_PKT5_S7_PT6_21rocsparse_index_base_b,@function
_ZN9rocsparseL22bsrxmvn_general_kernelILj64ELj8E21rocsparse_complex_numIdEiiS1_IfES2_S2_EEv20rocsparse_direction_NS_24const_host_device_scalarIT1_EET3_PKS8_PKT2_SD_SA_PKT4_S8_PKT5_S7_PT6_21rocsparse_index_base_b: ; @_ZN9rocsparseL22bsrxmvn_general_kernelILj64ELj8E21rocsparse_complex_numIdEiiS1_IfES2_S2_EEv20rocsparse_direction_NS_24const_host_device_scalarIT1_EET3_PKS8_PKT2_SD_SA_PKT4_S8_PKT5_S7_PT6_21rocsparse_index_base_b
; %bb.0:
	s_clause 0x1
	s_load_dwordx2 s[16:17], s[4:5], 0x70
	s_load_dwordx2 s[0:1], s[4:5], 0x8
	s_add_u32 s7, s4, 8
	s_addc_u32 s8, s5, 0
	s_add_u32 s9, s4, 0x58
	s_addc_u32 s10, s5, 0
	s_load_dwordx2 s[2:3], s[4:5], 0x58
	s_waitcnt lgkmcnt(0)
	s_bitcmp1_b32 s17, 0
	s_cselect_b32 s0, s7, s0
	s_cselect_b32 s1, s8, s1
	v_mov_b32_e32 v1, s0
	v_mov_b32_e32 v2, s1
	s_cselect_b32 s0, s9, s2
	s_cselect_b32 s1, s10, s3
	v_mov_b32_e32 v5, s0
	v_mov_b32_e32 v6, s1
	flat_load_dwordx4 v[1:4], v[1:2]
	flat_load_dwordx4 v[5:8], v[5:6]
	s_waitcnt vmcnt(1) lgkmcnt(1)
	v_cmp_eq_f64_e32 vcc_lo, 0, v[1:2]
	v_cmp_eq_f64_e64 s0, 0, v[3:4]
	s_and_b32 s2, vcc_lo, s0
	s_mov_b32 s0, -1
	s_and_saveexec_b32 s1, s2
	s_cbranch_execz .LBB99_2
; %bb.1:
	s_waitcnt vmcnt(0) lgkmcnt(0)
	v_cmp_neq_f64_e32 vcc_lo, 1.0, v[5:6]
	v_cmp_neq_f64_e64 s0, 0, v[7:8]
	s_or_b32 s0, vcc_lo, s0
	s_orn2_b32 s0, s0, exec_lo
.LBB99_2:
	s_or_b32 exec_lo, exec_lo, s1
	s_and_saveexec_b32 s1, s0
	s_cbranch_execz .LBB99_24
; %bb.3:
	s_load_dwordx2 s[0:1], s[4:5], 0x20
	s_waitcnt lgkmcnt(0)
	s_cmp_eq_u64 s[0:1], 0
	s_cbranch_scc1 .LBB99_5
; %bb.4:
	s_ashr_i32 s7, s6, 31
	s_lshl_b64 s[2:3], s[6:7], 2
	s_add_u32 s0, s0, s2
	s_addc_u32 s1, s1, s3
	s_load_dword s0, s[0:1], 0x0
	s_waitcnt lgkmcnt(0)
	s_sub_i32 s6, s0, s16
.LBB99_5:
	s_load_dword s17, s[4:5], 0x48
	v_lshrrev_b32_e32 v13, 3, v0
	s_waitcnt lgkmcnt(0)
	v_cmp_gt_i32_e32 vcc_lo, s17, v13
	s_and_b32 exec_lo, exec_lo, vcc_lo
	s_cbranch_execz .LBB99_24
; %bb.6:
	s_load_dwordx8 s[8:15], s[4:5], 0x28
	s_ashr_i32 s7, s6, 31
	v_mbcnt_lo_u32_b32 v9, -1, 0
	s_lshl_b64 s[0:1], s[6:7], 2
	s_load_dword s24, s[4:5], 0x0
	s_waitcnt vmcnt(0)
	v_cmp_eq_f64_e32 vcc_lo, 0, v[5:6]
	v_cmp_eq_f64_e64 s2, 0, v[7:8]
	v_xor_b32_e32 v10, 4, v9
	v_xor_b32_e32 v11, 2, v9
	;; [unrolled: 1-line block ×3, first 2 shown]
	v_and_b32_e32 v15, 7, v0
	v_mov_b32_e32 v14, 0
	s_mul_i32 s7, s17, s17
	v_mul_lo_u32 v0, s17, v13
	s_mul_i32 s6, s6, s17
	v_mul_lo_u32 v23, s17, v15
	v_mov_b32_e32 v16, v14
	s_waitcnt lgkmcnt(0)
	s_add_u32 s22, s8, s0
	s_addc_u32 s23, s9, s1
	s_load_dword s21, s[22:23], 0x0
	s_clause 0x1
	s_load_dwordx2 s[8:9], s[4:5], 0x68
	s_load_dwordx2 s[18:19], s[4:5], 0x50
	s_mul_hi_u32 s5, s17, s17
	s_mov_b32 s4, 0
	s_waitcnt lgkmcnt(0)
	s_sub_i32 s20, s21, s16
	s_add_u32 s3, s22, 4
	s_addc_u32 s22, s23, 0
	s_add_u32 s0, s10, s0
	s_addc_u32 s1, s11, s1
	s_cmp_eq_u64 s[10:11], 0
	s_mul_hi_u32 s23, s20, s7
	s_cselect_b32 s1, s22, s1
	s_cselect_b32 s0, s3, s0
	v_cmp_gt_i32_e64 s3, 32, v10
	s_load_dword s11, s[0:1], 0x0
	v_cmp_gt_u32_e64 s0, s17, v15
	v_cmp_eq_u32_e64 s1, 7, v15
	v_cndmask_b32_e64 v10, v9, v10, s3
	v_cmp_gt_i32_e64 s3, 32, v11
	v_lshlrev_b32_e32 v24, 2, v10
	v_cndmask_b32_e64 v11, v9, v11, s3
	v_cmp_gt_i32_e64 s3, 32, v12
	v_lshlrev_b32_e32 v25, 2, v11
	v_cndmask_b32_e64 v9, v9, v12, s3
	s_mul_i32 s3, s20, s5
	s_waitcnt lgkmcnt(0)
	s_sub_i32 s10, s11, s16
	s_cmp_lt_i32 s21, s11
	v_lshlrev_b32_e32 v26, 2, v9
	s_cselect_b32 s21, -1, 0
	s_cmp_lg_u32 s24, 0
	s_mul_i32 s11, s20, s7
	s_cselect_b32 s22, -1, 0
	s_ashr_i32 s24, s20, 31
	s_add_i32 s3, s23, s3
	s_mul_i32 s24, s24, s7
	s_and_b32 s23, vcc_lo, s2
	s_add_i32 s24, s3, s24
	s_lshl_b32 s25, s17, 3
	s_branch .LBB99_8
.LBB99_7:                               ;   in Loop: Header=BB99_8 Depth=1
	s_or_b32 exec_lo, exec_lo, s2
	v_add_nc_u32_e32 v13, 8, v13
	v_add_nc_u32_e32 v0, s25, v0
	v_cmp_le_i32_e32 vcc_lo, s17, v13
	s_or_b32 s4, vcc_lo, s4
	s_andn2_b32 exec_lo, exec_lo, s4
	s_cbranch_execz .LBB99_24
.LBB99_8:                               ; =>This Loop Header: Depth=1
                                        ;     Child Loop BB99_12 Depth 2
                                        ;       Child Loop BB99_15 Depth 3
	v_mov_b32_e32 v9, 0
	v_mov_b32_e32 v11, 0
	;; [unrolled: 1-line block ×4, first 2 shown]
	s_andn2_b32 vcc_lo, exec_lo, s21
	s_cbranch_vccnz .LBB99_19
; %bb.9:                                ;   in Loop: Header=BB99_8 Depth=1
	s_waitcnt lgkmcnt(3)
	v_ashrrev_i32_e32 v17, 31, v0
	v_add_co_u32 v27, vcc_lo, s11, v0
	v_mov_b32_e32 v9, 0
	v_mov_b32_e32 v11, 0
	;; [unrolled: 1-line block ×4, first 2 shown]
	v_add_co_ci_u32_e64 v28, null, s24, v17, vcc_lo
	s_mov_b32 s2, s20
	s_branch .LBB99_12
.LBB99_10:                              ;   in Loop: Header=BB99_12 Depth=2
	s_or_b32 exec_lo, exec_lo, s3
.LBB99_11:                              ;   in Loop: Header=BB99_12 Depth=2
	s_or_b32 exec_lo, exec_lo, s26
	v_add_co_u32 v27, vcc_lo, v27, s7
	v_add_co_ci_u32_e64 v28, null, s5, v28, vcc_lo
	s_add_i32 s2, s2, 1
	s_cmp_ge_i32 s2, s10
	s_cbranch_scc1 .LBB99_19
.LBB99_12:                              ;   Parent Loop BB99_8 Depth=1
                                        ; =>  This Loop Header: Depth=2
                                        ;       Child Loop BB99_15 Depth 3
	s_and_saveexec_b32 s26, s0
	s_cbranch_execz .LBB99_11
; %bb.13:                               ;   in Loop: Header=BB99_12 Depth=2
	s_ashr_i32 s3, s2, 31
	s_waitcnt lgkmcnt(2)
	v_mad_u64_u32 v[17:18], null, s7, s2, v[13:14]
	s_lshl_b64 s[28:29], s[2:3], 2
	s_mul_i32 s3, s7, s3
	s_add_u32 s28, s12, s28
	s_addc_u32 s29, s13, s29
	s_waitcnt lgkmcnt(0)
	v_mov_b32_e32 v20, v16
	s_load_dword s27, s[28:29], 0x0
	s_mul_i32 s28, s5, s2
	v_mov_b32_e32 v29, v23
	v_mov_b32_e32 v19, v15
	v_add3_u32 v18, s3, s28, v18
	s_waitcnt lgkmcnt(0)
	s_sub_i32 s3, s27, s16
	s_mul_i32 s27, s3, s17
	s_mov_b32 s3, 0
	s_branch .LBB99_15
.LBB99_14:                              ;   in Loop: Header=BB99_15 Depth=3
	v_lshlrev_b64 v[21:22], 3, v[21:22]
	v_add_nc_u32_e32 v30, s27, v19
	v_add_nc_u32_e32 v29, s25, v29
	v_ashrrev_i32_e32 v31, 31, v30
	v_add_co_u32 v21, vcc_lo, s14, v21
	v_add_co_ci_u32_e64 v22, null, s15, v22, vcc_lo
	v_lshlrev_b64 v[30:31], 4, v[30:31]
	global_load_dwordx2 v[21:22], v[21:22], off
	v_add_co_u32 v30, vcc_lo, s18, v30
	v_add_co_ci_u32_e64 v31, null, s19, v31, vcc_lo
	v_add_co_u32 v19, vcc_lo, v19, 8
	v_add_co_ci_u32_e64 v20, null, 0, v20, vcc_lo
	global_load_dwordx4 v[30:33], v[30:31], off
	v_cmp_le_i32_e32 vcc_lo, s17, v19
	s_or_b32 s3, vcc_lo, s3
	s_waitcnt vmcnt(1)
	v_cvt_f64_f32_e32 v[34:35], v21
	v_cvt_f64_f32_e32 v[21:22], v22
	s_waitcnt vmcnt(0)
	v_fma_f64 v[11:12], v[34:35], v[30:31], v[11:12]
	v_fma_f64 v[9:10], v[21:22], v[30:31], v[9:10]
	v_fma_f64 v[11:12], -v[21:22], v[32:33], v[11:12]
	v_fma_f64 v[9:10], v[34:35], v[32:33], v[9:10]
	s_andn2_b32 exec_lo, exec_lo, s3
	s_cbranch_execz .LBB99_10
.LBB99_15:                              ;   Parent Loop BB99_8 Depth=1
                                        ;     Parent Loop BB99_12 Depth=2
                                        ; =>    This Inner Loop Header: Depth=3
	s_and_b32 vcc_lo, exec_lo, s22
	s_cbranch_vccz .LBB99_17
; %bb.16:                               ;   in Loop: Header=BB99_15 Depth=3
	v_ashrrev_i32_e32 v22, 31, v29
	v_add_co_u32 v21, vcc_lo, v17, v29
	v_add_co_ci_u32_e64 v22, null, v18, v22, vcc_lo
	s_cbranch_execnz .LBB99_14
	s_branch .LBB99_18
.LBB99_17:                              ;   in Loop: Header=BB99_15 Depth=3
                                        ; implicit-def: $vgpr21_vgpr22
.LBB99_18:                              ;   in Loop: Header=BB99_15 Depth=3
	v_add_co_u32 v21, vcc_lo, v27, v19
	v_add_co_ci_u32_e64 v22, null, v28, v20, vcc_lo
	s_branch .LBB99_14
.LBB99_19:                              ;   in Loop: Header=BB99_8 Depth=1
	s_waitcnt lgkmcnt(3)
	ds_bpermute_b32 v17, v24, v11
	s_waitcnt lgkmcnt(3)
	ds_bpermute_b32 v18, v24, v12
	;; [unrolled: 2-line block ×4, first 2 shown]
	s_waitcnt lgkmcnt(2)
	v_add_f64 v[11:12], v[11:12], v[17:18]
	s_waitcnt lgkmcnt(0)
	v_add_f64 v[17:18], v[9:10], v[19:20]
	ds_bpermute_b32 v9, v25, v11
	ds_bpermute_b32 v10, v25, v12
	;; [unrolled: 1-line block ×4, first 2 shown]
	s_waitcnt lgkmcnt(2)
	v_add_f64 v[9:10], v[11:12], v[9:10]
	s_waitcnt lgkmcnt(0)
	v_add_f64 v[11:12], v[17:18], v[19:20]
	ds_bpermute_b32 v17, v26, v9
	ds_bpermute_b32 v18, v26, v10
	;; [unrolled: 1-line block ×4, first 2 shown]
	s_and_saveexec_b32 s2, s1
	s_cbranch_execz .LBB99_7
; %bb.20:                               ;   in Loop: Header=BB99_8 Depth=1
	s_waitcnt lgkmcnt(0)
	v_add_f64 v[11:12], v[11:12], v[19:20]
	v_add_f64 v[17:18], v[9:10], v[17:18]
	v_mul_f64 v[9:10], v[11:12], -v[3:4]
	v_mul_f64 v[11:12], v[1:2], v[11:12]
	v_fma_f64 v[9:10], v[1:2], v[17:18], v[9:10]
	v_fma_f64 v[11:12], v[3:4], v[17:18], v[11:12]
	v_add_nc_u32_e32 v17, s6, v13
	v_ashrrev_i32_e32 v18, 31, v17
	s_and_saveexec_b32 s3, s23
	s_xor_b32 s3, exec_lo, s3
	s_cbranch_execz .LBB99_22
; %bb.21:                               ;   in Loop: Header=BB99_8 Depth=1
	v_lshlrev_b64 v[17:18], 4, v[17:18]
	v_add_co_u32 v17, vcc_lo, s8, v17
	v_add_co_ci_u32_e64 v18, null, s9, v18, vcc_lo
	global_store_dwordx4 v[17:18], v[9:12], off
                                        ; implicit-def: $vgpr17
                                        ; implicit-def: $vgpr9_vgpr10
.LBB99_22:                              ;   in Loop: Header=BB99_8 Depth=1
	s_andn2_saveexec_b32 s3, s3
	s_cbranch_execz .LBB99_7
; %bb.23:                               ;   in Loop: Header=BB99_8 Depth=1
	v_lshlrev_b64 v[17:18], 4, v[17:18]
	v_add_co_u32 v21, vcc_lo, s8, v17
	v_add_co_ci_u32_e64 v22, null, s9, v18, vcc_lo
	global_load_dwordx4 v[17:20], v[21:22], off
	s_waitcnt vmcnt(0)
	v_fma_f64 v[9:10], v[5:6], v[17:18], v[9:10]
	v_fma_f64 v[11:12], v[7:8], v[17:18], v[11:12]
	v_fma_f64 v[9:10], -v[7:8], v[19:20], v[9:10]
	v_fma_f64 v[11:12], v[5:6], v[19:20], v[11:12]
	global_store_dwordx4 v[21:22], v[9:12], off
	s_branch .LBB99_7
.LBB99_24:
	s_endpgm
	.section	.rodata,"a",@progbits
	.p2align	6, 0x0
	.amdhsa_kernel _ZN9rocsparseL22bsrxmvn_general_kernelILj64ELj8E21rocsparse_complex_numIdEiiS1_IfES2_S2_EEv20rocsparse_direction_NS_24const_host_device_scalarIT1_EET3_PKS8_PKT2_SD_SA_PKT4_S8_PKT5_S7_PT6_21rocsparse_index_base_b
		.amdhsa_group_segment_fixed_size 0
		.amdhsa_private_segment_fixed_size 0
		.amdhsa_kernarg_size 120
		.amdhsa_user_sgpr_count 6
		.amdhsa_user_sgpr_private_segment_buffer 1
		.amdhsa_user_sgpr_dispatch_ptr 0
		.amdhsa_user_sgpr_queue_ptr 0
		.amdhsa_user_sgpr_kernarg_segment_ptr 1
		.amdhsa_user_sgpr_dispatch_id 0
		.amdhsa_user_sgpr_flat_scratch_init 0
		.amdhsa_user_sgpr_private_segment_size 0
		.amdhsa_wavefront_size32 1
		.amdhsa_uses_dynamic_stack 0
		.amdhsa_system_sgpr_private_segment_wavefront_offset 0
		.amdhsa_system_sgpr_workgroup_id_x 1
		.amdhsa_system_sgpr_workgroup_id_y 0
		.amdhsa_system_sgpr_workgroup_id_z 0
		.amdhsa_system_sgpr_workgroup_info 0
		.amdhsa_system_vgpr_workitem_id 0
		.amdhsa_next_free_vgpr 36
		.amdhsa_next_free_sgpr 30
		.amdhsa_reserve_vcc 1
		.amdhsa_reserve_flat_scratch 0
		.amdhsa_float_round_mode_32 0
		.amdhsa_float_round_mode_16_64 0
		.amdhsa_float_denorm_mode_32 3
		.amdhsa_float_denorm_mode_16_64 3
		.amdhsa_dx10_clamp 1
		.amdhsa_ieee_mode 1
		.amdhsa_fp16_overflow 0
		.amdhsa_workgroup_processor_mode 1
		.amdhsa_memory_ordered 1
		.amdhsa_forward_progress 1
		.amdhsa_shared_vgpr_count 0
		.amdhsa_exception_fp_ieee_invalid_op 0
		.amdhsa_exception_fp_denorm_src 0
		.amdhsa_exception_fp_ieee_div_zero 0
		.amdhsa_exception_fp_ieee_overflow 0
		.amdhsa_exception_fp_ieee_underflow 0
		.amdhsa_exception_fp_ieee_inexact 0
		.amdhsa_exception_int_div_zero 0
	.end_amdhsa_kernel
	.section	.text._ZN9rocsparseL22bsrxmvn_general_kernelILj64ELj8E21rocsparse_complex_numIdEiiS1_IfES2_S2_EEv20rocsparse_direction_NS_24const_host_device_scalarIT1_EET3_PKS8_PKT2_SD_SA_PKT4_S8_PKT5_S7_PT6_21rocsparse_index_base_b,"axG",@progbits,_ZN9rocsparseL22bsrxmvn_general_kernelILj64ELj8E21rocsparse_complex_numIdEiiS1_IfES2_S2_EEv20rocsparse_direction_NS_24const_host_device_scalarIT1_EET3_PKS8_PKT2_SD_SA_PKT4_S8_PKT5_S7_PT6_21rocsparse_index_base_b,comdat
.Lfunc_end99:
	.size	_ZN9rocsparseL22bsrxmvn_general_kernelILj64ELj8E21rocsparse_complex_numIdEiiS1_IfES2_S2_EEv20rocsparse_direction_NS_24const_host_device_scalarIT1_EET3_PKS8_PKT2_SD_SA_PKT4_S8_PKT5_S7_PT6_21rocsparse_index_base_b, .Lfunc_end99-_ZN9rocsparseL22bsrxmvn_general_kernelILj64ELj8E21rocsparse_complex_numIdEiiS1_IfES2_S2_EEv20rocsparse_direction_NS_24const_host_device_scalarIT1_EET3_PKS8_PKT2_SD_SA_PKT4_S8_PKT5_S7_PT6_21rocsparse_index_base_b
                                        ; -- End function
	.set _ZN9rocsparseL22bsrxmvn_general_kernelILj64ELj8E21rocsparse_complex_numIdEiiS1_IfES2_S2_EEv20rocsparse_direction_NS_24const_host_device_scalarIT1_EET3_PKS8_PKT2_SD_SA_PKT4_S8_PKT5_S7_PT6_21rocsparse_index_base_b.num_vgpr, 36
	.set _ZN9rocsparseL22bsrxmvn_general_kernelILj64ELj8E21rocsparse_complex_numIdEiiS1_IfES2_S2_EEv20rocsparse_direction_NS_24const_host_device_scalarIT1_EET3_PKS8_PKT2_SD_SA_PKT4_S8_PKT5_S7_PT6_21rocsparse_index_base_b.num_agpr, 0
	.set _ZN9rocsparseL22bsrxmvn_general_kernelILj64ELj8E21rocsparse_complex_numIdEiiS1_IfES2_S2_EEv20rocsparse_direction_NS_24const_host_device_scalarIT1_EET3_PKS8_PKT2_SD_SA_PKT4_S8_PKT5_S7_PT6_21rocsparse_index_base_b.numbered_sgpr, 30
	.set _ZN9rocsparseL22bsrxmvn_general_kernelILj64ELj8E21rocsparse_complex_numIdEiiS1_IfES2_S2_EEv20rocsparse_direction_NS_24const_host_device_scalarIT1_EET3_PKS8_PKT2_SD_SA_PKT4_S8_PKT5_S7_PT6_21rocsparse_index_base_b.num_named_barrier, 0
	.set _ZN9rocsparseL22bsrxmvn_general_kernelILj64ELj8E21rocsparse_complex_numIdEiiS1_IfES2_S2_EEv20rocsparse_direction_NS_24const_host_device_scalarIT1_EET3_PKS8_PKT2_SD_SA_PKT4_S8_PKT5_S7_PT6_21rocsparse_index_base_b.private_seg_size, 0
	.set _ZN9rocsparseL22bsrxmvn_general_kernelILj64ELj8E21rocsparse_complex_numIdEiiS1_IfES2_S2_EEv20rocsparse_direction_NS_24const_host_device_scalarIT1_EET3_PKS8_PKT2_SD_SA_PKT4_S8_PKT5_S7_PT6_21rocsparse_index_base_b.uses_vcc, 1
	.set _ZN9rocsparseL22bsrxmvn_general_kernelILj64ELj8E21rocsparse_complex_numIdEiiS1_IfES2_S2_EEv20rocsparse_direction_NS_24const_host_device_scalarIT1_EET3_PKS8_PKT2_SD_SA_PKT4_S8_PKT5_S7_PT6_21rocsparse_index_base_b.uses_flat_scratch, 0
	.set _ZN9rocsparseL22bsrxmvn_general_kernelILj64ELj8E21rocsparse_complex_numIdEiiS1_IfES2_S2_EEv20rocsparse_direction_NS_24const_host_device_scalarIT1_EET3_PKS8_PKT2_SD_SA_PKT4_S8_PKT5_S7_PT6_21rocsparse_index_base_b.has_dyn_sized_stack, 0
	.set _ZN9rocsparseL22bsrxmvn_general_kernelILj64ELj8E21rocsparse_complex_numIdEiiS1_IfES2_S2_EEv20rocsparse_direction_NS_24const_host_device_scalarIT1_EET3_PKS8_PKT2_SD_SA_PKT4_S8_PKT5_S7_PT6_21rocsparse_index_base_b.has_recursion, 0
	.set _ZN9rocsparseL22bsrxmvn_general_kernelILj64ELj8E21rocsparse_complex_numIdEiiS1_IfES2_S2_EEv20rocsparse_direction_NS_24const_host_device_scalarIT1_EET3_PKS8_PKT2_SD_SA_PKT4_S8_PKT5_S7_PT6_21rocsparse_index_base_b.has_indirect_call, 0
	.section	.AMDGPU.csdata,"",@progbits
; Kernel info:
; codeLenInByte = 1388
; TotalNumSgprs: 32
; NumVgprs: 36
; ScratchSize: 0
; MemoryBound: 0
; FloatMode: 240
; IeeeMode: 1
; LDSByteSize: 0 bytes/workgroup (compile time only)
; SGPRBlocks: 0
; VGPRBlocks: 4
; NumSGPRsForWavesPerEU: 32
; NumVGPRsForWavesPerEU: 36
; Occupancy: 16
; WaveLimiterHint : 1
; COMPUTE_PGM_RSRC2:SCRATCH_EN: 0
; COMPUTE_PGM_RSRC2:USER_SGPR: 6
; COMPUTE_PGM_RSRC2:TRAP_HANDLER: 0
; COMPUTE_PGM_RSRC2:TGID_X_EN: 1
; COMPUTE_PGM_RSRC2:TGID_Y_EN: 0
; COMPUTE_PGM_RSRC2:TGID_Z_EN: 0
; COMPUTE_PGM_RSRC2:TIDIG_COMP_CNT: 0
	.section	.text._ZN9rocsparseL22bsrxmvn_general_kernelILj256ELj16E21rocsparse_complex_numIdEiiS1_IfES2_S2_EEv20rocsparse_direction_NS_24const_host_device_scalarIT1_EET3_PKS8_PKT2_SD_SA_PKT4_S8_PKT5_S7_PT6_21rocsparse_index_base_b,"axG",@progbits,_ZN9rocsparseL22bsrxmvn_general_kernelILj256ELj16E21rocsparse_complex_numIdEiiS1_IfES2_S2_EEv20rocsparse_direction_NS_24const_host_device_scalarIT1_EET3_PKS8_PKT2_SD_SA_PKT4_S8_PKT5_S7_PT6_21rocsparse_index_base_b,comdat
	.globl	_ZN9rocsparseL22bsrxmvn_general_kernelILj256ELj16E21rocsparse_complex_numIdEiiS1_IfES2_S2_EEv20rocsparse_direction_NS_24const_host_device_scalarIT1_EET3_PKS8_PKT2_SD_SA_PKT4_S8_PKT5_S7_PT6_21rocsparse_index_base_b ; -- Begin function _ZN9rocsparseL22bsrxmvn_general_kernelILj256ELj16E21rocsparse_complex_numIdEiiS1_IfES2_S2_EEv20rocsparse_direction_NS_24const_host_device_scalarIT1_EET3_PKS8_PKT2_SD_SA_PKT4_S8_PKT5_S7_PT6_21rocsparse_index_base_b
	.p2align	8
	.type	_ZN9rocsparseL22bsrxmvn_general_kernelILj256ELj16E21rocsparse_complex_numIdEiiS1_IfES2_S2_EEv20rocsparse_direction_NS_24const_host_device_scalarIT1_EET3_PKS8_PKT2_SD_SA_PKT4_S8_PKT5_S7_PT6_21rocsparse_index_base_b,@function
_ZN9rocsparseL22bsrxmvn_general_kernelILj256ELj16E21rocsparse_complex_numIdEiiS1_IfES2_S2_EEv20rocsparse_direction_NS_24const_host_device_scalarIT1_EET3_PKS8_PKT2_SD_SA_PKT4_S8_PKT5_S7_PT6_21rocsparse_index_base_b: ; @_ZN9rocsparseL22bsrxmvn_general_kernelILj256ELj16E21rocsparse_complex_numIdEiiS1_IfES2_S2_EEv20rocsparse_direction_NS_24const_host_device_scalarIT1_EET3_PKS8_PKT2_SD_SA_PKT4_S8_PKT5_S7_PT6_21rocsparse_index_base_b
; %bb.0:
	s_clause 0x1
	s_load_dwordx2 s[16:17], s[4:5], 0x70
	s_load_dwordx2 s[0:1], s[4:5], 0x8
	s_add_u32 s7, s4, 8
	s_addc_u32 s8, s5, 0
	s_add_u32 s9, s4, 0x58
	s_addc_u32 s10, s5, 0
	s_load_dwordx2 s[2:3], s[4:5], 0x58
	s_waitcnt lgkmcnt(0)
	s_bitcmp1_b32 s17, 0
	s_cselect_b32 s0, s7, s0
	s_cselect_b32 s1, s8, s1
	v_mov_b32_e32 v1, s0
	v_mov_b32_e32 v2, s1
	s_cselect_b32 s0, s9, s2
	s_cselect_b32 s1, s10, s3
	v_mov_b32_e32 v5, s0
	v_mov_b32_e32 v6, s1
	flat_load_dwordx4 v[1:4], v[1:2]
	flat_load_dwordx4 v[5:8], v[5:6]
	s_waitcnt vmcnt(1) lgkmcnt(1)
	v_cmp_eq_f64_e32 vcc_lo, 0, v[1:2]
	v_cmp_eq_f64_e64 s0, 0, v[3:4]
	s_and_b32 s2, vcc_lo, s0
	s_mov_b32 s0, -1
	s_and_saveexec_b32 s1, s2
	s_cbranch_execz .LBB100_2
; %bb.1:
	s_waitcnt vmcnt(0) lgkmcnt(0)
	v_cmp_neq_f64_e32 vcc_lo, 1.0, v[5:6]
	v_cmp_neq_f64_e64 s0, 0, v[7:8]
	s_or_b32 s0, vcc_lo, s0
	s_orn2_b32 s0, s0, exec_lo
.LBB100_2:
	s_or_b32 exec_lo, exec_lo, s1
	s_and_saveexec_b32 s1, s0
	s_cbranch_execz .LBB100_24
; %bb.3:
	s_load_dwordx2 s[0:1], s[4:5], 0x20
	s_waitcnt lgkmcnt(0)
	s_cmp_eq_u64 s[0:1], 0
	s_cbranch_scc1 .LBB100_5
; %bb.4:
	s_ashr_i32 s7, s6, 31
	s_lshl_b64 s[2:3], s[6:7], 2
	s_add_u32 s0, s0, s2
	s_addc_u32 s1, s1, s3
	s_load_dword s0, s[0:1], 0x0
	s_waitcnt lgkmcnt(0)
	s_sub_i32 s6, s0, s16
.LBB100_5:
	s_load_dword s17, s[4:5], 0x48
	v_lshrrev_b32_e32 v13, 4, v0
	s_waitcnt lgkmcnt(0)
	v_cmp_gt_i32_e32 vcc_lo, s17, v13
	s_and_b32 exec_lo, exec_lo, vcc_lo
	s_cbranch_execz .LBB100_24
; %bb.6:
	s_load_dwordx8 s[8:15], s[4:5], 0x28
	s_ashr_i32 s7, s6, 31
	v_mbcnt_lo_u32_b32 v9, -1, 0
	s_lshl_b64 s[22:23], s[6:7], 2
	s_load_dword s26, s[4:5], 0x0
	s_waitcnt vmcnt(0)
	v_cmp_eq_f64_e32 vcc_lo, 0, v[5:6]
	v_cmp_eq_f64_e64 s2, 0, v[7:8]
	v_xor_b32_e32 v10, 8, v9
	v_xor_b32_e32 v11, 4, v9
	;; [unrolled: 1-line block ×4, first 2 shown]
	v_and_b32_e32 v15, 15, v0
	v_mov_b32_e32 v14, 0
	s_mul_i32 s7, s17, s17
	v_mul_lo_u32 v0, s17, v13
	s_mul_i32 s6, s6, s17
	v_mul_lo_u32 v23, s17, v15
	v_cmp_gt_u32_e64 s0, s17, v15
	v_mov_b32_e32 v16, v14
	s_waitcnt lgkmcnt(0)
	s_add_u32 s24, s8, s22
	s_addc_u32 s25, s9, s23
	s_load_dword s21, s[24:25], 0x0
	s_clause 0x1
	s_load_dwordx2 s[8:9], s[4:5], 0x68
	s_load_dwordx2 s[18:19], s[4:5], 0x50
	s_mul_hi_u32 s5, s17, s17
	s_mov_b32 s4, 0
	s_waitcnt lgkmcnt(0)
	s_sub_i32 s20, s21, s16
	s_add_u32 s1, s24, 4
	s_addc_u32 s3, s25, 0
	s_add_u32 s22, s10, s22
	s_addc_u32 s23, s11, s23
	s_cmp_eq_u64 s[10:11], 0
	s_cselect_b32 s11, s3, s23
	s_cselect_b32 s10, s1, s22
	v_cmp_gt_i32_e64 s3, 32, v10
	s_load_dword s11, s[10:11], 0x0
	s_mul_hi_u32 s23, s20, s7
	v_cmp_eq_u32_e64 s1, 15, v15
	v_cndmask_b32_e64 v10, v9, v10, s3
	v_cmp_gt_i32_e64 s3, 32, v11
	v_lshlrev_b32_e32 v24, 2, v10
	v_cndmask_b32_e64 v11, v9, v11, s3
	v_cmp_gt_i32_e64 s3, 32, v12
	v_lshlrev_b32_e32 v25, 2, v11
	v_cndmask_b32_e64 v12, v9, v12, s3
	v_cmp_gt_i32_e64 s3, 32, v17
	s_waitcnt lgkmcnt(0)
	s_sub_i32 s10, s11, s16
	s_cmp_lt_i32 s21, s11
	v_cndmask_b32_e64 v9, v9, v17, s3
	s_cselect_b32 s21, -1, 0
	s_cmp_lg_u32 s26, 0
	s_mul_i32 s3, s20, s5
	s_cselect_b32 s22, -1, 0
	s_ashr_i32 s24, s20, 31
	v_lshlrev_b32_e32 v26, 2, v12
	v_lshlrev_b32_e32 v27, 2, v9
	s_add_i32 s3, s23, s3
	s_mul_i32 s24, s24, s7
	s_mul_i32 s11, s20, s7
	s_and_b32 s23, vcc_lo, s2
	s_add_i32 s24, s3, s24
	s_lshl_b32 s25, s17, 4
	s_branch .LBB100_8
.LBB100_7:                              ;   in Loop: Header=BB100_8 Depth=1
	s_or_b32 exec_lo, exec_lo, s2
	v_add_nc_u32_e32 v13, 16, v13
	v_add_nc_u32_e32 v0, s25, v0
	v_cmp_le_i32_e32 vcc_lo, s17, v13
	s_or_b32 s4, vcc_lo, s4
	s_andn2_b32 exec_lo, exec_lo, s4
	s_cbranch_execz .LBB100_24
.LBB100_8:                              ; =>This Loop Header: Depth=1
                                        ;     Child Loop BB100_12 Depth 2
                                        ;       Child Loop BB100_15 Depth 3
	v_mov_b32_e32 v9, 0
	v_mov_b32_e32 v11, 0
	;; [unrolled: 1-line block ×4, first 2 shown]
	s_andn2_b32 vcc_lo, exec_lo, s21
	s_cbranch_vccnz .LBB100_19
; %bb.9:                                ;   in Loop: Header=BB100_8 Depth=1
	s_waitcnt lgkmcnt(3)
	v_ashrrev_i32_e32 v17, 31, v0
	v_add_co_u32 v28, vcc_lo, s11, v0
	v_mov_b32_e32 v9, 0
	v_mov_b32_e32 v11, 0
	;; [unrolled: 1-line block ×4, first 2 shown]
	v_add_co_ci_u32_e64 v29, null, s24, v17, vcc_lo
	s_mov_b32 s2, s20
	s_branch .LBB100_12
.LBB100_10:                             ;   in Loop: Header=BB100_12 Depth=2
	s_or_b32 exec_lo, exec_lo, s3
.LBB100_11:                             ;   in Loop: Header=BB100_12 Depth=2
	s_or_b32 exec_lo, exec_lo, s26
	v_add_co_u32 v28, vcc_lo, v28, s7
	v_add_co_ci_u32_e64 v29, null, s5, v29, vcc_lo
	s_add_i32 s2, s2, 1
	s_cmp_ge_i32 s2, s10
	s_cbranch_scc1 .LBB100_19
.LBB100_12:                             ;   Parent Loop BB100_8 Depth=1
                                        ; =>  This Loop Header: Depth=2
                                        ;       Child Loop BB100_15 Depth 3
	s_and_saveexec_b32 s26, s0
	s_cbranch_execz .LBB100_11
; %bb.13:                               ;   in Loop: Header=BB100_12 Depth=2
	s_ashr_i32 s3, s2, 31
	s_waitcnt lgkmcnt(2)
	v_mad_u64_u32 v[17:18], null, s7, s2, v[13:14]
	s_lshl_b64 s[28:29], s[2:3], 2
	s_mul_i32 s3, s7, s3
	s_add_u32 s28, s12, s28
	s_addc_u32 s29, s13, s29
	s_waitcnt lgkmcnt(0)
	v_mov_b32_e32 v20, v16
	s_load_dword s27, s[28:29], 0x0
	s_mul_i32 s28, s5, s2
	v_mov_b32_e32 v30, v23
	v_mov_b32_e32 v19, v15
	v_add3_u32 v18, s3, s28, v18
	s_waitcnt lgkmcnt(0)
	s_sub_i32 s3, s27, s16
	s_mul_i32 s27, s3, s17
	s_mov_b32 s3, 0
	s_branch .LBB100_15
.LBB100_14:                             ;   in Loop: Header=BB100_15 Depth=3
	v_lshlrev_b64 v[21:22], 3, v[21:22]
	v_add_nc_u32_e32 v31, s27, v19
	v_add_nc_u32_e32 v30, s25, v30
	v_ashrrev_i32_e32 v32, 31, v31
	v_add_co_u32 v21, vcc_lo, s14, v21
	v_add_co_ci_u32_e64 v22, null, s15, v22, vcc_lo
	v_lshlrev_b64 v[31:32], 4, v[31:32]
	global_load_dwordx2 v[21:22], v[21:22], off
	v_add_co_u32 v31, vcc_lo, s18, v31
	v_add_co_ci_u32_e64 v32, null, s19, v32, vcc_lo
	v_add_co_u32 v19, vcc_lo, v19, 16
	v_add_co_ci_u32_e64 v20, null, 0, v20, vcc_lo
	global_load_dwordx4 v[31:34], v[31:32], off
	v_cmp_le_i32_e32 vcc_lo, s17, v19
	s_or_b32 s3, vcc_lo, s3
	s_waitcnt vmcnt(1)
	v_cvt_f64_f32_e32 v[35:36], v21
	v_cvt_f64_f32_e32 v[21:22], v22
	s_waitcnt vmcnt(0)
	v_fma_f64 v[11:12], v[35:36], v[31:32], v[11:12]
	v_fma_f64 v[9:10], v[21:22], v[31:32], v[9:10]
	v_fma_f64 v[11:12], -v[21:22], v[33:34], v[11:12]
	v_fma_f64 v[9:10], v[35:36], v[33:34], v[9:10]
	s_andn2_b32 exec_lo, exec_lo, s3
	s_cbranch_execz .LBB100_10
.LBB100_15:                             ;   Parent Loop BB100_8 Depth=1
                                        ;     Parent Loop BB100_12 Depth=2
                                        ; =>    This Inner Loop Header: Depth=3
	s_and_b32 vcc_lo, exec_lo, s22
	s_cbranch_vccz .LBB100_17
; %bb.16:                               ;   in Loop: Header=BB100_15 Depth=3
	v_ashrrev_i32_e32 v22, 31, v30
	v_add_co_u32 v21, vcc_lo, v17, v30
	v_add_co_ci_u32_e64 v22, null, v18, v22, vcc_lo
	s_cbranch_execnz .LBB100_14
	s_branch .LBB100_18
.LBB100_17:                             ;   in Loop: Header=BB100_15 Depth=3
                                        ; implicit-def: $vgpr21_vgpr22
.LBB100_18:                             ;   in Loop: Header=BB100_15 Depth=3
	v_add_co_u32 v21, vcc_lo, v28, v19
	v_add_co_ci_u32_e64 v22, null, v29, v20, vcc_lo
	s_branch .LBB100_14
.LBB100_19:                             ;   in Loop: Header=BB100_8 Depth=1
	s_waitcnt lgkmcnt(3)
	ds_bpermute_b32 v17, v24, v11
	s_waitcnt lgkmcnt(3)
	ds_bpermute_b32 v18, v24, v12
	;; [unrolled: 2-line block ×4, first 2 shown]
	s_waitcnt lgkmcnt(2)
	v_add_f64 v[11:12], v[11:12], v[17:18]
	s_waitcnt lgkmcnt(0)
	v_add_f64 v[9:10], v[9:10], v[19:20]
	ds_bpermute_b32 v17, v25, v11
	ds_bpermute_b32 v18, v25, v12
	ds_bpermute_b32 v19, v25, v9
	ds_bpermute_b32 v20, v25, v10
	s_waitcnt lgkmcnt(2)
	v_add_f64 v[11:12], v[11:12], v[17:18]
	s_waitcnt lgkmcnt(0)
	v_add_f64 v[17:18], v[9:10], v[19:20]
	ds_bpermute_b32 v9, v26, v11
	ds_bpermute_b32 v10, v26, v12
	ds_bpermute_b32 v19, v26, v17
	ds_bpermute_b32 v20, v26, v18
	;; [unrolled: 8-line block ×3, first 2 shown]
	s_and_saveexec_b32 s2, s1
	s_cbranch_execz .LBB100_7
; %bb.20:                               ;   in Loop: Header=BB100_8 Depth=1
	s_waitcnt lgkmcnt(0)
	v_add_f64 v[11:12], v[11:12], v[19:20]
	v_add_f64 v[17:18], v[9:10], v[17:18]
	v_mul_f64 v[9:10], v[11:12], -v[3:4]
	v_mul_f64 v[11:12], v[1:2], v[11:12]
	v_fma_f64 v[9:10], v[1:2], v[17:18], v[9:10]
	v_fma_f64 v[11:12], v[3:4], v[17:18], v[11:12]
	v_add_nc_u32_e32 v17, s6, v13
	v_ashrrev_i32_e32 v18, 31, v17
	s_and_saveexec_b32 s3, s23
	s_xor_b32 s3, exec_lo, s3
	s_cbranch_execz .LBB100_22
; %bb.21:                               ;   in Loop: Header=BB100_8 Depth=1
	v_lshlrev_b64 v[17:18], 4, v[17:18]
	v_add_co_u32 v17, vcc_lo, s8, v17
	v_add_co_ci_u32_e64 v18, null, s9, v18, vcc_lo
	global_store_dwordx4 v[17:18], v[9:12], off
                                        ; implicit-def: $vgpr17
                                        ; implicit-def: $vgpr9_vgpr10
.LBB100_22:                             ;   in Loop: Header=BB100_8 Depth=1
	s_andn2_saveexec_b32 s3, s3
	s_cbranch_execz .LBB100_7
; %bb.23:                               ;   in Loop: Header=BB100_8 Depth=1
	v_lshlrev_b64 v[17:18], 4, v[17:18]
	v_add_co_u32 v21, vcc_lo, s8, v17
	v_add_co_ci_u32_e64 v22, null, s9, v18, vcc_lo
	global_load_dwordx4 v[17:20], v[21:22], off
	s_waitcnt vmcnt(0)
	v_fma_f64 v[9:10], v[5:6], v[17:18], v[9:10]
	v_fma_f64 v[11:12], v[7:8], v[17:18], v[11:12]
	v_fma_f64 v[9:10], -v[7:8], v[19:20], v[9:10]
	v_fma_f64 v[11:12], v[5:6], v[19:20], v[11:12]
	global_store_dwordx4 v[21:22], v[9:12], off
	s_branch .LBB100_7
.LBB100_24:
	s_endpgm
	.section	.rodata,"a",@progbits
	.p2align	6, 0x0
	.amdhsa_kernel _ZN9rocsparseL22bsrxmvn_general_kernelILj256ELj16E21rocsparse_complex_numIdEiiS1_IfES2_S2_EEv20rocsparse_direction_NS_24const_host_device_scalarIT1_EET3_PKS8_PKT2_SD_SA_PKT4_S8_PKT5_S7_PT6_21rocsparse_index_base_b
		.amdhsa_group_segment_fixed_size 0
		.amdhsa_private_segment_fixed_size 0
		.amdhsa_kernarg_size 120
		.amdhsa_user_sgpr_count 6
		.amdhsa_user_sgpr_private_segment_buffer 1
		.amdhsa_user_sgpr_dispatch_ptr 0
		.amdhsa_user_sgpr_queue_ptr 0
		.amdhsa_user_sgpr_kernarg_segment_ptr 1
		.amdhsa_user_sgpr_dispatch_id 0
		.amdhsa_user_sgpr_flat_scratch_init 0
		.amdhsa_user_sgpr_private_segment_size 0
		.amdhsa_wavefront_size32 1
		.amdhsa_uses_dynamic_stack 0
		.amdhsa_system_sgpr_private_segment_wavefront_offset 0
		.amdhsa_system_sgpr_workgroup_id_x 1
		.amdhsa_system_sgpr_workgroup_id_y 0
		.amdhsa_system_sgpr_workgroup_id_z 0
		.amdhsa_system_sgpr_workgroup_info 0
		.amdhsa_system_vgpr_workitem_id 0
		.amdhsa_next_free_vgpr 37
		.amdhsa_next_free_sgpr 30
		.amdhsa_reserve_vcc 1
		.amdhsa_reserve_flat_scratch 0
		.amdhsa_float_round_mode_32 0
		.amdhsa_float_round_mode_16_64 0
		.amdhsa_float_denorm_mode_32 3
		.amdhsa_float_denorm_mode_16_64 3
		.amdhsa_dx10_clamp 1
		.amdhsa_ieee_mode 1
		.amdhsa_fp16_overflow 0
		.amdhsa_workgroup_processor_mode 1
		.amdhsa_memory_ordered 1
		.amdhsa_forward_progress 1
		.amdhsa_shared_vgpr_count 0
		.amdhsa_exception_fp_ieee_invalid_op 0
		.amdhsa_exception_fp_denorm_src 0
		.amdhsa_exception_fp_ieee_div_zero 0
		.amdhsa_exception_fp_ieee_overflow 0
		.amdhsa_exception_fp_ieee_underflow 0
		.amdhsa_exception_fp_ieee_inexact 0
		.amdhsa_exception_int_div_zero 0
	.end_amdhsa_kernel
	.section	.text._ZN9rocsparseL22bsrxmvn_general_kernelILj256ELj16E21rocsparse_complex_numIdEiiS1_IfES2_S2_EEv20rocsparse_direction_NS_24const_host_device_scalarIT1_EET3_PKS8_PKT2_SD_SA_PKT4_S8_PKT5_S7_PT6_21rocsparse_index_base_b,"axG",@progbits,_ZN9rocsparseL22bsrxmvn_general_kernelILj256ELj16E21rocsparse_complex_numIdEiiS1_IfES2_S2_EEv20rocsparse_direction_NS_24const_host_device_scalarIT1_EET3_PKS8_PKT2_SD_SA_PKT4_S8_PKT5_S7_PT6_21rocsparse_index_base_b,comdat
.Lfunc_end100:
	.size	_ZN9rocsparseL22bsrxmvn_general_kernelILj256ELj16E21rocsparse_complex_numIdEiiS1_IfES2_S2_EEv20rocsparse_direction_NS_24const_host_device_scalarIT1_EET3_PKS8_PKT2_SD_SA_PKT4_S8_PKT5_S7_PT6_21rocsparse_index_base_b, .Lfunc_end100-_ZN9rocsparseL22bsrxmvn_general_kernelILj256ELj16E21rocsparse_complex_numIdEiiS1_IfES2_S2_EEv20rocsparse_direction_NS_24const_host_device_scalarIT1_EET3_PKS8_PKT2_SD_SA_PKT4_S8_PKT5_S7_PT6_21rocsparse_index_base_b
                                        ; -- End function
	.set _ZN9rocsparseL22bsrxmvn_general_kernelILj256ELj16E21rocsparse_complex_numIdEiiS1_IfES2_S2_EEv20rocsparse_direction_NS_24const_host_device_scalarIT1_EET3_PKS8_PKT2_SD_SA_PKT4_S8_PKT5_S7_PT6_21rocsparse_index_base_b.num_vgpr, 37
	.set _ZN9rocsparseL22bsrxmvn_general_kernelILj256ELj16E21rocsparse_complex_numIdEiiS1_IfES2_S2_EEv20rocsparse_direction_NS_24const_host_device_scalarIT1_EET3_PKS8_PKT2_SD_SA_PKT4_S8_PKT5_S7_PT6_21rocsparse_index_base_b.num_agpr, 0
	.set _ZN9rocsparseL22bsrxmvn_general_kernelILj256ELj16E21rocsparse_complex_numIdEiiS1_IfES2_S2_EEv20rocsparse_direction_NS_24const_host_device_scalarIT1_EET3_PKS8_PKT2_SD_SA_PKT4_S8_PKT5_S7_PT6_21rocsparse_index_base_b.numbered_sgpr, 30
	.set _ZN9rocsparseL22bsrxmvn_general_kernelILj256ELj16E21rocsparse_complex_numIdEiiS1_IfES2_S2_EEv20rocsparse_direction_NS_24const_host_device_scalarIT1_EET3_PKS8_PKT2_SD_SA_PKT4_S8_PKT5_S7_PT6_21rocsparse_index_base_b.num_named_barrier, 0
	.set _ZN9rocsparseL22bsrxmvn_general_kernelILj256ELj16E21rocsparse_complex_numIdEiiS1_IfES2_S2_EEv20rocsparse_direction_NS_24const_host_device_scalarIT1_EET3_PKS8_PKT2_SD_SA_PKT4_S8_PKT5_S7_PT6_21rocsparse_index_base_b.private_seg_size, 0
	.set _ZN9rocsparseL22bsrxmvn_general_kernelILj256ELj16E21rocsparse_complex_numIdEiiS1_IfES2_S2_EEv20rocsparse_direction_NS_24const_host_device_scalarIT1_EET3_PKS8_PKT2_SD_SA_PKT4_S8_PKT5_S7_PT6_21rocsparse_index_base_b.uses_vcc, 1
	.set _ZN9rocsparseL22bsrxmvn_general_kernelILj256ELj16E21rocsparse_complex_numIdEiiS1_IfES2_S2_EEv20rocsparse_direction_NS_24const_host_device_scalarIT1_EET3_PKS8_PKT2_SD_SA_PKT4_S8_PKT5_S7_PT6_21rocsparse_index_base_b.uses_flat_scratch, 0
	.set _ZN9rocsparseL22bsrxmvn_general_kernelILj256ELj16E21rocsparse_complex_numIdEiiS1_IfES2_S2_EEv20rocsparse_direction_NS_24const_host_device_scalarIT1_EET3_PKS8_PKT2_SD_SA_PKT4_S8_PKT5_S7_PT6_21rocsparse_index_base_b.has_dyn_sized_stack, 0
	.set _ZN9rocsparseL22bsrxmvn_general_kernelILj256ELj16E21rocsparse_complex_numIdEiiS1_IfES2_S2_EEv20rocsparse_direction_NS_24const_host_device_scalarIT1_EET3_PKS8_PKT2_SD_SA_PKT4_S8_PKT5_S7_PT6_21rocsparse_index_base_b.has_recursion, 0
	.set _ZN9rocsparseL22bsrxmvn_general_kernelILj256ELj16E21rocsparse_complex_numIdEiiS1_IfES2_S2_EEv20rocsparse_direction_NS_24const_host_device_scalarIT1_EET3_PKS8_PKT2_SD_SA_PKT4_S8_PKT5_S7_PT6_21rocsparse_index_base_b.has_indirect_call, 0
	.section	.AMDGPU.csdata,"",@progbits
; Kernel info:
; codeLenInByte = 1468
; TotalNumSgprs: 32
; NumVgprs: 37
; ScratchSize: 0
; MemoryBound: 0
; FloatMode: 240
; IeeeMode: 1
; LDSByteSize: 0 bytes/workgroup (compile time only)
; SGPRBlocks: 0
; VGPRBlocks: 4
; NumSGPRsForWavesPerEU: 32
; NumVGPRsForWavesPerEU: 37
; Occupancy: 16
; WaveLimiterHint : 1
; COMPUTE_PGM_RSRC2:SCRATCH_EN: 0
; COMPUTE_PGM_RSRC2:USER_SGPR: 6
; COMPUTE_PGM_RSRC2:TRAP_HANDLER: 0
; COMPUTE_PGM_RSRC2:TGID_X_EN: 1
; COMPUTE_PGM_RSRC2:TGID_Y_EN: 0
; COMPUTE_PGM_RSRC2:TGID_Z_EN: 0
; COMPUTE_PGM_RSRC2:TIDIG_COMP_CNT: 0
	.section	.text._ZN9rocsparseL22bsrxmvn_general_kernelILj1024ELj32E21rocsparse_complex_numIdEiiS1_IfES2_S2_EEv20rocsparse_direction_NS_24const_host_device_scalarIT1_EET3_PKS8_PKT2_SD_SA_PKT4_S8_PKT5_S7_PT6_21rocsparse_index_base_b,"axG",@progbits,_ZN9rocsparseL22bsrxmvn_general_kernelILj1024ELj32E21rocsparse_complex_numIdEiiS1_IfES2_S2_EEv20rocsparse_direction_NS_24const_host_device_scalarIT1_EET3_PKS8_PKT2_SD_SA_PKT4_S8_PKT5_S7_PT6_21rocsparse_index_base_b,comdat
	.globl	_ZN9rocsparseL22bsrxmvn_general_kernelILj1024ELj32E21rocsparse_complex_numIdEiiS1_IfES2_S2_EEv20rocsparse_direction_NS_24const_host_device_scalarIT1_EET3_PKS8_PKT2_SD_SA_PKT4_S8_PKT5_S7_PT6_21rocsparse_index_base_b ; -- Begin function _ZN9rocsparseL22bsrxmvn_general_kernelILj1024ELj32E21rocsparse_complex_numIdEiiS1_IfES2_S2_EEv20rocsparse_direction_NS_24const_host_device_scalarIT1_EET3_PKS8_PKT2_SD_SA_PKT4_S8_PKT5_S7_PT6_21rocsparse_index_base_b
	.p2align	8
	.type	_ZN9rocsparseL22bsrxmvn_general_kernelILj1024ELj32E21rocsparse_complex_numIdEiiS1_IfES2_S2_EEv20rocsparse_direction_NS_24const_host_device_scalarIT1_EET3_PKS8_PKT2_SD_SA_PKT4_S8_PKT5_S7_PT6_21rocsparse_index_base_b,@function
_ZN9rocsparseL22bsrxmvn_general_kernelILj1024ELj32E21rocsparse_complex_numIdEiiS1_IfES2_S2_EEv20rocsparse_direction_NS_24const_host_device_scalarIT1_EET3_PKS8_PKT2_SD_SA_PKT4_S8_PKT5_S7_PT6_21rocsparse_index_base_b: ; @_ZN9rocsparseL22bsrxmvn_general_kernelILj1024ELj32E21rocsparse_complex_numIdEiiS1_IfES2_S2_EEv20rocsparse_direction_NS_24const_host_device_scalarIT1_EET3_PKS8_PKT2_SD_SA_PKT4_S8_PKT5_S7_PT6_21rocsparse_index_base_b
; %bb.0:
	s_clause 0x1
	s_load_dwordx2 s[16:17], s[4:5], 0x70
	s_load_dwordx2 s[0:1], s[4:5], 0x8
	s_add_u32 s7, s4, 8
	s_addc_u32 s8, s5, 0
	s_add_u32 s9, s4, 0x58
	s_addc_u32 s10, s5, 0
	s_load_dwordx2 s[2:3], s[4:5], 0x58
	s_waitcnt lgkmcnt(0)
	s_bitcmp1_b32 s17, 0
	s_cselect_b32 s0, s7, s0
	s_cselect_b32 s1, s8, s1
	v_mov_b32_e32 v1, s0
	v_mov_b32_e32 v2, s1
	s_cselect_b32 s0, s9, s2
	s_cselect_b32 s1, s10, s3
	v_mov_b32_e32 v5, s0
	v_mov_b32_e32 v6, s1
	flat_load_dwordx4 v[1:4], v[1:2]
	flat_load_dwordx4 v[5:8], v[5:6]
	s_waitcnt vmcnt(1) lgkmcnt(1)
	v_cmp_eq_f64_e32 vcc_lo, 0, v[1:2]
	v_cmp_eq_f64_e64 s0, 0, v[3:4]
	s_and_b32 s2, vcc_lo, s0
	s_mov_b32 s0, -1
	s_and_saveexec_b32 s1, s2
	s_cbranch_execz .LBB101_2
; %bb.1:
	s_waitcnt vmcnt(0) lgkmcnt(0)
	v_cmp_neq_f64_e32 vcc_lo, 1.0, v[5:6]
	v_cmp_neq_f64_e64 s0, 0, v[7:8]
	s_or_b32 s0, vcc_lo, s0
	s_orn2_b32 s0, s0, exec_lo
.LBB101_2:
	s_or_b32 exec_lo, exec_lo, s1
	s_and_saveexec_b32 s1, s0
	s_cbranch_execz .LBB101_24
; %bb.3:
	s_load_dwordx2 s[0:1], s[4:5], 0x20
	s_waitcnt lgkmcnt(0)
	s_cmp_eq_u64 s[0:1], 0
	s_cbranch_scc1 .LBB101_5
; %bb.4:
	s_ashr_i32 s7, s6, 31
	s_lshl_b64 s[2:3], s[6:7], 2
	s_add_u32 s0, s0, s2
	s_addc_u32 s1, s1, s3
	s_load_dword s0, s[0:1], 0x0
	s_waitcnt lgkmcnt(0)
	s_sub_i32 s6, s0, s16
.LBB101_5:
	s_load_dword s17, s[4:5], 0x48
	v_lshrrev_b32_e32 v13, 5, v0
	s_waitcnt lgkmcnt(0)
	v_cmp_gt_i32_e32 vcc_lo, s17, v13
	s_and_b32 exec_lo, exec_lo, vcc_lo
	s_cbranch_execz .LBB101_24
; %bb.6:
	s_load_dwordx8 s[8:15], s[4:5], 0x28
	s_ashr_i32 s7, s6, 31
	v_mbcnt_lo_u32_b32 v9, -1, 0
	s_lshl_b64 s[22:23], s[6:7], 2
	s_load_dword s26, s[4:5], 0x0
	s_waitcnt vmcnt(0)
	v_cmp_eq_f64_e32 vcc_lo, 0, v[5:6]
	v_cmp_eq_f64_e64 s2, 0, v[7:8]
	v_xor_b32_e32 v10, 16, v9
	v_xor_b32_e32 v11, 8, v9
	v_xor_b32_e32 v12, 4, v9
	v_xor_b32_e32 v17, 2, v9
	v_xor_b32_e32 v18, 1, v9
	v_and_b32_e32 v15, 31, v0
	v_mov_b32_e32 v14, 0
	s_mul_i32 s7, s17, s17
	v_mul_lo_u32 v0, s17, v13
	s_mul_i32 s6, s6, s17
	v_mul_lo_u32 v23, s17, v15
	v_cmp_gt_u32_e64 s0, s17, v15
	v_mov_b32_e32 v16, v14
	s_waitcnt lgkmcnt(0)
	s_add_u32 s24, s8, s22
	s_addc_u32 s25, s9, s23
	s_load_dword s21, s[24:25], 0x0
	s_clause 0x1
	s_load_dwordx2 s[8:9], s[4:5], 0x68
	s_load_dwordx2 s[18:19], s[4:5], 0x50
	s_mul_hi_u32 s5, s17, s17
	s_mov_b32 s4, 0
	s_waitcnt lgkmcnt(0)
	s_sub_i32 s20, s21, s16
	s_add_u32 s1, s24, 4
	s_addc_u32 s3, s25, 0
	s_add_u32 s22, s10, s22
	s_addc_u32 s23, s11, s23
	s_cmp_eq_u64 s[10:11], 0
	s_cselect_b32 s11, s3, s23
	v_cmp_gt_i32_e64 s3, 32, v10
	s_cselect_b32 s10, s1, s22
	s_mul_hi_u32 s23, s20, s7
	s_load_dword s11, s[10:11], 0x0
	v_cmp_eq_u32_e64 s1, 31, v15
	v_cndmask_b32_e64 v10, v9, v10, s3
	v_cmp_gt_i32_e64 s3, 32, v11
	v_lshlrev_b32_e32 v24, 2, v10
	v_cndmask_b32_e64 v11, v9, v11, s3
	v_cmp_gt_i32_e64 s3, 32, v12
	v_lshlrev_b32_e32 v25, 2, v11
	;; [unrolled: 3-line block ×3, first 2 shown]
	v_cndmask_b32_e64 v17, v9, v17, s3
	v_cmp_gt_i32_e64 s3, 32, v18
	s_waitcnt lgkmcnt(0)
	s_sub_i32 s10, s11, s16
	s_cmp_lt_i32 s21, s11
	s_mul_i32 s11, s20, s7
	s_cselect_b32 s21, -1, 0
	v_cndmask_b32_e64 v9, v9, v18, s3
	s_cmp_lg_u32 s26, 0
	s_mul_i32 s3, s20, s5
	s_cselect_b32 s22, -1, 0
	s_ashr_i32 s24, s20, 31
	v_lshlrev_b32_e32 v27, 2, v17
	v_lshlrev_b32_e32 v28, 2, v9
	s_add_i32 s3, s23, s3
	s_mul_i32 s24, s24, s7
	s_and_b32 s23, vcc_lo, s2
	s_add_i32 s24, s3, s24
	s_lshl_b32 s25, s17, 5
	s_branch .LBB101_8
.LBB101_7:                              ;   in Loop: Header=BB101_8 Depth=1
	s_or_b32 exec_lo, exec_lo, s2
	v_add_nc_u32_e32 v13, 32, v13
	v_add_nc_u32_e32 v0, s25, v0
	v_cmp_le_i32_e32 vcc_lo, s17, v13
	s_or_b32 s4, vcc_lo, s4
	s_andn2_b32 exec_lo, exec_lo, s4
	s_cbranch_execz .LBB101_24
.LBB101_8:                              ; =>This Loop Header: Depth=1
                                        ;     Child Loop BB101_12 Depth 2
                                        ;       Child Loop BB101_15 Depth 3
	v_mov_b32_e32 v9, 0
	v_mov_b32_e32 v11, 0
	;; [unrolled: 1-line block ×4, first 2 shown]
	s_andn2_b32 vcc_lo, exec_lo, s21
	s_cbranch_vccnz .LBB101_19
; %bb.9:                                ;   in Loop: Header=BB101_8 Depth=1
	s_waitcnt lgkmcnt(3)
	v_ashrrev_i32_e32 v17, 31, v0
	v_add_co_u32 v29, vcc_lo, s11, v0
	v_mov_b32_e32 v9, 0
	v_mov_b32_e32 v11, 0
	;; [unrolled: 1-line block ×4, first 2 shown]
	v_add_co_ci_u32_e64 v30, null, s24, v17, vcc_lo
	s_mov_b32 s2, s20
	s_branch .LBB101_12
.LBB101_10:                             ;   in Loop: Header=BB101_12 Depth=2
	s_or_b32 exec_lo, exec_lo, s3
.LBB101_11:                             ;   in Loop: Header=BB101_12 Depth=2
	s_or_b32 exec_lo, exec_lo, s26
	v_add_co_u32 v29, vcc_lo, v29, s7
	v_add_co_ci_u32_e64 v30, null, s5, v30, vcc_lo
	s_add_i32 s2, s2, 1
	s_cmp_ge_i32 s2, s10
	s_cbranch_scc1 .LBB101_19
.LBB101_12:                             ;   Parent Loop BB101_8 Depth=1
                                        ; =>  This Loop Header: Depth=2
                                        ;       Child Loop BB101_15 Depth 3
	s_and_saveexec_b32 s26, s0
	s_cbranch_execz .LBB101_11
; %bb.13:                               ;   in Loop: Header=BB101_12 Depth=2
	s_ashr_i32 s3, s2, 31
	s_waitcnt lgkmcnt(2)
	v_mad_u64_u32 v[17:18], null, s7, s2, v[13:14]
	s_lshl_b64 s[28:29], s[2:3], 2
	s_mul_i32 s3, s7, s3
	s_add_u32 s28, s12, s28
	s_addc_u32 s29, s13, s29
	s_waitcnt lgkmcnt(0)
	v_mov_b32_e32 v20, v16
	s_load_dword s27, s[28:29], 0x0
	s_mul_i32 s28, s5, s2
	v_mov_b32_e32 v31, v23
	v_mov_b32_e32 v19, v15
	v_add3_u32 v18, s3, s28, v18
	s_waitcnt lgkmcnt(0)
	s_sub_i32 s3, s27, s16
	s_mul_i32 s27, s3, s17
	s_mov_b32 s3, 0
	s_branch .LBB101_15
.LBB101_14:                             ;   in Loop: Header=BB101_15 Depth=3
	v_lshlrev_b64 v[21:22], 3, v[21:22]
	v_add_nc_u32_e32 v32, s27, v19
	v_add_nc_u32_e32 v31, s25, v31
	v_ashrrev_i32_e32 v33, 31, v32
	v_add_co_u32 v21, vcc_lo, s14, v21
	v_add_co_ci_u32_e64 v22, null, s15, v22, vcc_lo
	v_lshlrev_b64 v[32:33], 4, v[32:33]
	global_load_dwordx2 v[21:22], v[21:22], off
	v_add_co_u32 v32, vcc_lo, s18, v32
	v_add_co_ci_u32_e64 v33, null, s19, v33, vcc_lo
	v_add_co_u32 v19, vcc_lo, v19, 32
	v_add_co_ci_u32_e64 v20, null, 0, v20, vcc_lo
	global_load_dwordx4 v[32:35], v[32:33], off
	v_cmp_le_i32_e32 vcc_lo, s17, v19
	s_or_b32 s3, vcc_lo, s3
	s_waitcnt vmcnt(1)
	v_cvt_f64_f32_e32 v[36:37], v21
	v_cvt_f64_f32_e32 v[21:22], v22
	s_waitcnt vmcnt(0)
	v_fma_f64 v[11:12], v[36:37], v[32:33], v[11:12]
	v_fma_f64 v[9:10], v[21:22], v[32:33], v[9:10]
	v_fma_f64 v[11:12], -v[21:22], v[34:35], v[11:12]
	v_fma_f64 v[9:10], v[36:37], v[34:35], v[9:10]
	s_andn2_b32 exec_lo, exec_lo, s3
	s_cbranch_execz .LBB101_10
.LBB101_15:                             ;   Parent Loop BB101_8 Depth=1
                                        ;     Parent Loop BB101_12 Depth=2
                                        ; =>    This Inner Loop Header: Depth=3
	s_and_b32 vcc_lo, exec_lo, s22
	s_cbranch_vccz .LBB101_17
; %bb.16:                               ;   in Loop: Header=BB101_15 Depth=3
	v_ashrrev_i32_e32 v22, 31, v31
	v_add_co_u32 v21, vcc_lo, v17, v31
	v_add_co_ci_u32_e64 v22, null, v18, v22, vcc_lo
	s_cbranch_execnz .LBB101_14
	s_branch .LBB101_18
.LBB101_17:                             ;   in Loop: Header=BB101_15 Depth=3
                                        ; implicit-def: $vgpr21_vgpr22
.LBB101_18:                             ;   in Loop: Header=BB101_15 Depth=3
	v_add_co_u32 v21, vcc_lo, v29, v19
	v_add_co_ci_u32_e64 v22, null, v30, v20, vcc_lo
	s_branch .LBB101_14
.LBB101_19:                             ;   in Loop: Header=BB101_8 Depth=1
	s_waitcnt lgkmcnt(3)
	ds_bpermute_b32 v17, v24, v11
	s_waitcnt lgkmcnt(3)
	ds_bpermute_b32 v18, v24, v12
	;; [unrolled: 2-line block ×4, first 2 shown]
	s_waitcnt lgkmcnt(2)
	v_add_f64 v[11:12], v[11:12], v[17:18]
	s_waitcnt lgkmcnt(0)
	v_add_f64 v[9:10], v[9:10], v[19:20]
	ds_bpermute_b32 v17, v25, v11
	ds_bpermute_b32 v18, v25, v12
	ds_bpermute_b32 v19, v25, v9
	ds_bpermute_b32 v20, v25, v10
	s_waitcnt lgkmcnt(2)
	v_add_f64 v[11:12], v[11:12], v[17:18]
	s_waitcnt lgkmcnt(0)
	v_add_f64 v[9:10], v[9:10], v[19:20]
	ds_bpermute_b32 v17, v26, v11
	ds_bpermute_b32 v18, v26, v12
	ds_bpermute_b32 v19, v26, v9
	ds_bpermute_b32 v20, v26, v10
	;; [unrolled: 8-line block ×4, first 2 shown]
	s_and_saveexec_b32 s2, s1
	s_cbranch_execz .LBB101_7
; %bb.20:                               ;   in Loop: Header=BB101_8 Depth=1
	s_waitcnt lgkmcnt(0)
	v_add_f64 v[11:12], v[11:12], v[19:20]
	v_add_f64 v[17:18], v[9:10], v[17:18]
	v_mul_f64 v[9:10], v[11:12], -v[3:4]
	v_mul_f64 v[11:12], v[1:2], v[11:12]
	v_fma_f64 v[9:10], v[1:2], v[17:18], v[9:10]
	v_fma_f64 v[11:12], v[3:4], v[17:18], v[11:12]
	v_add_nc_u32_e32 v17, s6, v13
	v_ashrrev_i32_e32 v18, 31, v17
	s_and_saveexec_b32 s3, s23
	s_xor_b32 s3, exec_lo, s3
	s_cbranch_execz .LBB101_22
; %bb.21:                               ;   in Loop: Header=BB101_8 Depth=1
	v_lshlrev_b64 v[17:18], 4, v[17:18]
	v_add_co_u32 v17, vcc_lo, s8, v17
	v_add_co_ci_u32_e64 v18, null, s9, v18, vcc_lo
	global_store_dwordx4 v[17:18], v[9:12], off
                                        ; implicit-def: $vgpr17
                                        ; implicit-def: $vgpr9_vgpr10
.LBB101_22:                             ;   in Loop: Header=BB101_8 Depth=1
	s_andn2_saveexec_b32 s3, s3
	s_cbranch_execz .LBB101_7
; %bb.23:                               ;   in Loop: Header=BB101_8 Depth=1
	v_lshlrev_b64 v[17:18], 4, v[17:18]
	v_add_co_u32 v21, vcc_lo, s8, v17
	v_add_co_ci_u32_e64 v22, null, s9, v18, vcc_lo
	global_load_dwordx4 v[17:20], v[21:22], off
	s_waitcnt vmcnt(0)
	v_fma_f64 v[9:10], v[5:6], v[17:18], v[9:10]
	v_fma_f64 v[11:12], v[7:8], v[17:18], v[11:12]
	v_fma_f64 v[9:10], -v[7:8], v[19:20], v[9:10]
	v_fma_f64 v[11:12], v[5:6], v[19:20], v[11:12]
	global_store_dwordx4 v[21:22], v[9:12], off
	s_branch .LBB101_7
.LBB101_24:
	s_endpgm
	.section	.rodata,"a",@progbits
	.p2align	6, 0x0
	.amdhsa_kernel _ZN9rocsparseL22bsrxmvn_general_kernelILj1024ELj32E21rocsparse_complex_numIdEiiS1_IfES2_S2_EEv20rocsparse_direction_NS_24const_host_device_scalarIT1_EET3_PKS8_PKT2_SD_SA_PKT4_S8_PKT5_S7_PT6_21rocsparse_index_base_b
		.amdhsa_group_segment_fixed_size 0
		.amdhsa_private_segment_fixed_size 0
		.amdhsa_kernarg_size 120
		.amdhsa_user_sgpr_count 6
		.amdhsa_user_sgpr_private_segment_buffer 1
		.amdhsa_user_sgpr_dispatch_ptr 0
		.amdhsa_user_sgpr_queue_ptr 0
		.amdhsa_user_sgpr_kernarg_segment_ptr 1
		.amdhsa_user_sgpr_dispatch_id 0
		.amdhsa_user_sgpr_flat_scratch_init 0
		.amdhsa_user_sgpr_private_segment_size 0
		.amdhsa_wavefront_size32 1
		.amdhsa_uses_dynamic_stack 0
		.amdhsa_system_sgpr_private_segment_wavefront_offset 0
		.amdhsa_system_sgpr_workgroup_id_x 1
		.amdhsa_system_sgpr_workgroup_id_y 0
		.amdhsa_system_sgpr_workgroup_id_z 0
		.amdhsa_system_sgpr_workgroup_info 0
		.amdhsa_system_vgpr_workitem_id 0
		.amdhsa_next_free_vgpr 38
		.amdhsa_next_free_sgpr 30
		.amdhsa_reserve_vcc 1
		.amdhsa_reserve_flat_scratch 0
		.amdhsa_float_round_mode_32 0
		.amdhsa_float_round_mode_16_64 0
		.amdhsa_float_denorm_mode_32 3
		.amdhsa_float_denorm_mode_16_64 3
		.amdhsa_dx10_clamp 1
		.amdhsa_ieee_mode 1
		.amdhsa_fp16_overflow 0
		.amdhsa_workgroup_processor_mode 1
		.amdhsa_memory_ordered 1
		.amdhsa_forward_progress 1
		.amdhsa_shared_vgpr_count 0
		.amdhsa_exception_fp_ieee_invalid_op 0
		.amdhsa_exception_fp_denorm_src 0
		.amdhsa_exception_fp_ieee_div_zero 0
		.amdhsa_exception_fp_ieee_overflow 0
		.amdhsa_exception_fp_ieee_underflow 0
		.amdhsa_exception_fp_ieee_inexact 0
		.amdhsa_exception_int_div_zero 0
	.end_amdhsa_kernel
	.section	.text._ZN9rocsparseL22bsrxmvn_general_kernelILj1024ELj32E21rocsparse_complex_numIdEiiS1_IfES2_S2_EEv20rocsparse_direction_NS_24const_host_device_scalarIT1_EET3_PKS8_PKT2_SD_SA_PKT4_S8_PKT5_S7_PT6_21rocsparse_index_base_b,"axG",@progbits,_ZN9rocsparseL22bsrxmvn_general_kernelILj1024ELj32E21rocsparse_complex_numIdEiiS1_IfES2_S2_EEv20rocsparse_direction_NS_24const_host_device_scalarIT1_EET3_PKS8_PKT2_SD_SA_PKT4_S8_PKT5_S7_PT6_21rocsparse_index_base_b,comdat
.Lfunc_end101:
	.size	_ZN9rocsparseL22bsrxmvn_general_kernelILj1024ELj32E21rocsparse_complex_numIdEiiS1_IfES2_S2_EEv20rocsparse_direction_NS_24const_host_device_scalarIT1_EET3_PKS8_PKT2_SD_SA_PKT4_S8_PKT5_S7_PT6_21rocsparse_index_base_b, .Lfunc_end101-_ZN9rocsparseL22bsrxmvn_general_kernelILj1024ELj32E21rocsparse_complex_numIdEiiS1_IfES2_S2_EEv20rocsparse_direction_NS_24const_host_device_scalarIT1_EET3_PKS8_PKT2_SD_SA_PKT4_S8_PKT5_S7_PT6_21rocsparse_index_base_b
                                        ; -- End function
	.set _ZN9rocsparseL22bsrxmvn_general_kernelILj1024ELj32E21rocsparse_complex_numIdEiiS1_IfES2_S2_EEv20rocsparse_direction_NS_24const_host_device_scalarIT1_EET3_PKS8_PKT2_SD_SA_PKT4_S8_PKT5_S7_PT6_21rocsparse_index_base_b.num_vgpr, 38
	.set _ZN9rocsparseL22bsrxmvn_general_kernelILj1024ELj32E21rocsparse_complex_numIdEiiS1_IfES2_S2_EEv20rocsparse_direction_NS_24const_host_device_scalarIT1_EET3_PKS8_PKT2_SD_SA_PKT4_S8_PKT5_S7_PT6_21rocsparse_index_base_b.num_agpr, 0
	.set _ZN9rocsparseL22bsrxmvn_general_kernelILj1024ELj32E21rocsparse_complex_numIdEiiS1_IfES2_S2_EEv20rocsparse_direction_NS_24const_host_device_scalarIT1_EET3_PKS8_PKT2_SD_SA_PKT4_S8_PKT5_S7_PT6_21rocsparse_index_base_b.numbered_sgpr, 30
	.set _ZN9rocsparseL22bsrxmvn_general_kernelILj1024ELj32E21rocsparse_complex_numIdEiiS1_IfES2_S2_EEv20rocsparse_direction_NS_24const_host_device_scalarIT1_EET3_PKS8_PKT2_SD_SA_PKT4_S8_PKT5_S7_PT6_21rocsparse_index_base_b.num_named_barrier, 0
	.set _ZN9rocsparseL22bsrxmvn_general_kernelILj1024ELj32E21rocsparse_complex_numIdEiiS1_IfES2_S2_EEv20rocsparse_direction_NS_24const_host_device_scalarIT1_EET3_PKS8_PKT2_SD_SA_PKT4_S8_PKT5_S7_PT6_21rocsparse_index_base_b.private_seg_size, 0
	.set _ZN9rocsparseL22bsrxmvn_general_kernelILj1024ELj32E21rocsparse_complex_numIdEiiS1_IfES2_S2_EEv20rocsparse_direction_NS_24const_host_device_scalarIT1_EET3_PKS8_PKT2_SD_SA_PKT4_S8_PKT5_S7_PT6_21rocsparse_index_base_b.uses_vcc, 1
	.set _ZN9rocsparseL22bsrxmvn_general_kernelILj1024ELj32E21rocsparse_complex_numIdEiiS1_IfES2_S2_EEv20rocsparse_direction_NS_24const_host_device_scalarIT1_EET3_PKS8_PKT2_SD_SA_PKT4_S8_PKT5_S7_PT6_21rocsparse_index_base_b.uses_flat_scratch, 0
	.set _ZN9rocsparseL22bsrxmvn_general_kernelILj1024ELj32E21rocsparse_complex_numIdEiiS1_IfES2_S2_EEv20rocsparse_direction_NS_24const_host_device_scalarIT1_EET3_PKS8_PKT2_SD_SA_PKT4_S8_PKT5_S7_PT6_21rocsparse_index_base_b.has_dyn_sized_stack, 0
	.set _ZN9rocsparseL22bsrxmvn_general_kernelILj1024ELj32E21rocsparse_complex_numIdEiiS1_IfES2_S2_EEv20rocsparse_direction_NS_24const_host_device_scalarIT1_EET3_PKS8_PKT2_SD_SA_PKT4_S8_PKT5_S7_PT6_21rocsparse_index_base_b.has_recursion, 0
	.set _ZN9rocsparseL22bsrxmvn_general_kernelILj1024ELj32E21rocsparse_complex_numIdEiiS1_IfES2_S2_EEv20rocsparse_direction_NS_24const_host_device_scalarIT1_EET3_PKS8_PKT2_SD_SA_PKT4_S8_PKT5_S7_PT6_21rocsparse_index_base_b.has_indirect_call, 0
	.section	.AMDGPU.csdata,"",@progbits
; Kernel info:
; codeLenInByte = 1548
; TotalNumSgprs: 32
; NumVgprs: 38
; ScratchSize: 0
; MemoryBound: 0
; FloatMode: 240
; IeeeMode: 1
; LDSByteSize: 0 bytes/workgroup (compile time only)
; SGPRBlocks: 0
; VGPRBlocks: 4
; NumSGPRsForWavesPerEU: 32
; NumVGPRsForWavesPerEU: 38
; Occupancy: 16
; WaveLimiterHint : 1
; COMPUTE_PGM_RSRC2:SCRATCH_EN: 0
; COMPUTE_PGM_RSRC2:USER_SGPR: 6
; COMPUTE_PGM_RSRC2:TRAP_HANDLER: 0
; COMPUTE_PGM_RSRC2:TGID_X_EN: 1
; COMPUTE_PGM_RSRC2:TGID_Y_EN: 0
; COMPUTE_PGM_RSRC2:TGID_Z_EN: 0
; COMPUTE_PGM_RSRC2:TIDIG_COMP_CNT: 0
	.section	.text._ZN9rocsparseL22bsrxmvn_general_kernelILj64ELj8E21rocsparse_complex_numIdEliS1_IfES2_S2_EEv20rocsparse_direction_NS_24const_host_device_scalarIT1_EET3_PKS8_PKT2_SD_SA_PKT4_S8_PKT5_S7_PT6_21rocsparse_index_base_b,"axG",@progbits,_ZN9rocsparseL22bsrxmvn_general_kernelILj64ELj8E21rocsparse_complex_numIdEliS1_IfES2_S2_EEv20rocsparse_direction_NS_24const_host_device_scalarIT1_EET3_PKS8_PKT2_SD_SA_PKT4_S8_PKT5_S7_PT6_21rocsparse_index_base_b,comdat
	.globl	_ZN9rocsparseL22bsrxmvn_general_kernelILj64ELj8E21rocsparse_complex_numIdEliS1_IfES2_S2_EEv20rocsparse_direction_NS_24const_host_device_scalarIT1_EET3_PKS8_PKT2_SD_SA_PKT4_S8_PKT5_S7_PT6_21rocsparse_index_base_b ; -- Begin function _ZN9rocsparseL22bsrxmvn_general_kernelILj64ELj8E21rocsparse_complex_numIdEliS1_IfES2_S2_EEv20rocsparse_direction_NS_24const_host_device_scalarIT1_EET3_PKS8_PKT2_SD_SA_PKT4_S8_PKT5_S7_PT6_21rocsparse_index_base_b
	.p2align	8
	.type	_ZN9rocsparseL22bsrxmvn_general_kernelILj64ELj8E21rocsparse_complex_numIdEliS1_IfES2_S2_EEv20rocsparse_direction_NS_24const_host_device_scalarIT1_EET3_PKS8_PKT2_SD_SA_PKT4_S8_PKT5_S7_PT6_21rocsparse_index_base_b,@function
_ZN9rocsparseL22bsrxmvn_general_kernelILj64ELj8E21rocsparse_complex_numIdEliS1_IfES2_S2_EEv20rocsparse_direction_NS_24const_host_device_scalarIT1_EET3_PKS8_PKT2_SD_SA_PKT4_S8_PKT5_S7_PT6_21rocsparse_index_base_b: ; @_ZN9rocsparseL22bsrxmvn_general_kernelILj64ELj8E21rocsparse_complex_numIdEliS1_IfES2_S2_EEv20rocsparse_direction_NS_24const_host_device_scalarIT1_EET3_PKS8_PKT2_SD_SA_PKT4_S8_PKT5_S7_PT6_21rocsparse_index_base_b
; %bb.0:
	s_clause 0x1
	s_load_dwordx2 s[16:17], s[4:5], 0x70
	s_load_dwordx2 s[0:1], s[4:5], 0x8
	s_add_u32 s7, s4, 8
	s_addc_u32 s8, s5, 0
	s_add_u32 s9, s4, 0x58
	s_addc_u32 s10, s5, 0
	s_load_dwordx2 s[2:3], s[4:5], 0x58
	s_waitcnt lgkmcnt(0)
	s_bitcmp1_b32 s17, 0
	s_cselect_b32 s0, s7, s0
	s_cselect_b32 s1, s8, s1
	v_mov_b32_e32 v1, s0
	v_mov_b32_e32 v2, s1
	s_cselect_b32 s0, s9, s2
	s_cselect_b32 s1, s10, s3
	v_mov_b32_e32 v5, s0
	v_mov_b32_e32 v6, s1
	flat_load_dwordx4 v[1:4], v[1:2]
	flat_load_dwordx4 v[5:8], v[5:6]
	s_waitcnt vmcnt(1) lgkmcnt(1)
	v_cmp_eq_f64_e32 vcc_lo, 0, v[1:2]
	v_cmp_eq_f64_e64 s0, 0, v[3:4]
	s_and_b32 s2, vcc_lo, s0
	s_mov_b32 s0, -1
	s_and_saveexec_b32 s1, s2
	s_cbranch_execz .LBB102_2
; %bb.1:
	s_waitcnt vmcnt(0) lgkmcnt(0)
	v_cmp_neq_f64_e32 vcc_lo, 1.0, v[5:6]
	v_cmp_neq_f64_e64 s0, 0, v[7:8]
	s_or_b32 s0, vcc_lo, s0
	s_orn2_b32 s0, s0, exec_lo
.LBB102_2:
	s_or_b32 exec_lo, exec_lo, s1
	s_and_saveexec_b32 s1, s0
	s_cbranch_execz .LBB102_24
; %bb.3:
	s_load_dwordx2 s[0:1], s[4:5], 0x20
	s_waitcnt lgkmcnt(0)
	s_cmp_eq_u64 s[0:1], 0
	s_cbranch_scc1 .LBB102_5
; %bb.4:
	s_ashr_i32 s7, s6, 31
	s_lshl_b64 s[2:3], s[6:7], 2
	s_add_u32 s0, s0, s2
	s_addc_u32 s1, s1, s3
	s_load_dword s0, s[0:1], 0x0
	s_waitcnt lgkmcnt(0)
	s_sub_i32 s6, s0, s16
.LBB102_5:
	s_load_dword s17, s[4:5], 0x48
	v_lshrrev_b32_e32 v13, 3, v0
	s_waitcnt lgkmcnt(0)
	v_cmp_gt_i32_e32 vcc_lo, s17, v13
	s_and_b32 exec_lo, exec_lo, vcc_lo
	s_cbranch_execz .LBB102_24
; %bb.6:
	s_load_dwordx8 s[8:15], s[4:5], 0x28
	s_ashr_i32 s7, s6, 31
	s_load_dword s3, s[4:5], 0x0
	s_lshl_b64 s[0:1], s[6:7], 3
	s_mul_i32 s23, s6, s17
	v_mbcnt_lo_u32_b32 v9, -1, 0
	s_waitcnt vmcnt(0)
	v_cmp_eq_f64_e32 vcc_lo, 0, v[5:6]
	v_cmp_eq_f64_e64 s2, 0, v[7:8]
	v_and_b32_e32 v15, 7, v0
	s_mul_hi_u32 s21, s17, s17
	v_xor_b32_e32 v10, 4, v9
	v_xor_b32_e32 v11, 2, v9
	;; [unrolled: 1-line block ×3, first 2 shown]
	s_mul_i32 s22, s17, s17
	v_mul_lo_u32 v0, s17, v13
	v_mul_lo_u32 v23, s17, v15
	v_mov_b32_e32 v16, 0
	s_mov_b32 s20, 0
	s_waitcnt lgkmcnt(0)
	s_add_u32 s24, s8, s0
	s_addc_u32 s25, s9, s1
	s_load_dwordx2 s[26:27], s[24:25], 0x0
	s_clause 0x1
	s_load_dwordx2 s[8:9], s[4:5], 0x68
	s_load_dwordx2 s[18:19], s[4:5], 0x50
	s_waitcnt lgkmcnt(0)
	s_sub_u32 s4, s26, s16
	s_subb_u32 s5, s27, 0
	s_add_u32 s6, s24, 8
	s_addc_u32 s7, s25, 0
	s_add_u32 s0, s10, s0
	s_addc_u32 s1, s11, s1
	s_cmp_eq_u64 s[10:11], 0
	s_mul_i32 s28, s4, s21
	s_cselect_b32 s1, s7, s1
	s_cselect_b32 s0, s6, s0
	s_mul_hi_u32 s29, s4, s22
	s_load_dwordx2 s[24:25], s[0:1], 0x0
	v_cmp_gt_i32_e64 s1, 32, v10
	v_cmp_gt_u32_e64 s0, s17, v15
	s_mul_i32 s30, s5, s22
	s_mul_i32 s10, s4, s22
	v_cndmask_b32_e64 v10, v9, v10, s1
	v_cmp_gt_i32_e64 s1, 32, v11
	v_lshlrev_b32_e32 v24, 2, v10
	v_cndmask_b32_e64 v11, v9, v11, s1
	v_cmp_gt_i32_e64 s1, 32, v12
	v_lshlrev_b32_e32 v25, 2, v11
	v_cndmask_b32_e64 v9, v9, v12, s1
	v_cmp_eq_u32_e64 s1, 7, v15
	s_waitcnt lgkmcnt(0)
	s_sub_u32 s6, s24, s16
	s_subb_u32 s7, s25, 0
	s_cmp_lg_u32 s3, 0
	v_cmp_lt_i64_e64 s11, s[26:27], s[24:25]
	v_lshlrev_b32_e32 v26, 2, v9
	s_cselect_b32 s24, -1, 0
	s_add_i32 s3, s29, s28
	s_and_b32 s25, vcc_lo, s2
	s_add_i32 s26, s3, s30
	s_lshl_b32 s27, s17, 3
	s_branch .LBB102_8
.LBB102_7:                              ;   in Loop: Header=BB102_8 Depth=1
	s_or_b32 exec_lo, exec_lo, s2
	v_add_nc_u32_e32 v13, 8, v13
	v_add_nc_u32_e32 v0, s27, v0
	v_cmp_le_i32_e32 vcc_lo, s17, v13
	s_or_b32 s20, vcc_lo, s20
	s_andn2_b32 exec_lo, exec_lo, s20
	s_cbranch_execz .LBB102_24
.LBB102_8:                              ; =>This Loop Header: Depth=1
                                        ;     Child Loop BB102_12 Depth 2
                                        ;       Child Loop BB102_15 Depth 3
	v_mov_b32_e32 v9, 0
	v_mov_b32_e32 v11, 0
	;; [unrolled: 1-line block ×4, first 2 shown]
	s_andn2_b32 vcc_lo, exec_lo, s11
	s_cbranch_vccnz .LBB102_19
; %bb.9:                                ;   in Loop: Header=BB102_8 Depth=1
	v_ashrrev_i32_e32 v11, 31, v0
	v_add_co_u32 v27, vcc_lo, s10, v0
	v_mov_b32_e32 v9, 0
	v_mov_b32_e32 v10, 0
	v_add_co_ci_u32_e64 v28, null, s26, v11, vcc_lo
	v_mov_b32_e32 v11, 0
	v_mov_b32_e32 v12, 0
	v_ashrrev_i32_e32 v14, 31, v13
	s_mov_b64 s[2:3], s[4:5]
	s_branch .LBB102_12
.LBB102_10:                             ;   in Loop: Header=BB102_12 Depth=2
	s_or_b32 exec_lo, exec_lo, s29
.LBB102_11:                             ;   in Loop: Header=BB102_12 Depth=2
	s_or_b32 exec_lo, exec_lo, s28
	s_add_u32 s2, s2, 1
	s_addc_u32 s3, s3, 0
	v_add_co_u32 v27, vcc_lo, v27, s22
	v_cmp_ge_i64_e64 s28, s[2:3], s[6:7]
	v_add_co_ci_u32_e64 v28, null, s21, v28, vcc_lo
	s_and_b32 vcc_lo, exec_lo, s28
	s_cbranch_vccnz .LBB102_19
.LBB102_12:                             ;   Parent Loop BB102_8 Depth=1
                                        ; =>  This Loop Header: Depth=2
                                        ;       Child Loop BB102_15 Depth 3
	s_and_saveexec_b32 s28, s0
	s_cbranch_execz .LBB102_11
; %bb.13:                               ;   in Loop: Header=BB102_12 Depth=2
	s_lshl_b64 s[30:31], s[2:3], 2
	s_waitcnt lgkmcnt(2)
	v_mad_u64_u32 v[17:18], null, s22, s2, v[13:14]
	s_add_u32 s30, s12, s30
	s_addc_u32 s31, s13, s31
	s_waitcnt lgkmcnt(0)
	v_mov_b32_e32 v20, v16
	s_load_dword s29, s[30:31], 0x0
	s_mul_i32 s30, s21, s2
	s_mul_i32 s31, s22, s3
	v_mov_b32_e32 v29, v23
	v_mov_b32_e32 v19, v15
	v_add3_u32 v18, s31, s30, v18
	s_waitcnt lgkmcnt(0)
	s_sub_i32 s29, s29, s16
	s_mul_i32 s30, s29, s17
	s_mov_b32 s29, 0
	s_branch .LBB102_15
.LBB102_14:                             ;   in Loop: Header=BB102_15 Depth=3
	v_lshlrev_b64 v[21:22], 3, v[21:22]
	v_add_nc_u32_e32 v30, s30, v19
	v_add_nc_u32_e32 v29, s27, v29
	v_ashrrev_i32_e32 v31, 31, v30
	v_add_co_u32 v21, vcc_lo, s14, v21
	v_add_co_ci_u32_e64 v22, null, s15, v22, vcc_lo
	v_lshlrev_b64 v[30:31], 4, v[30:31]
	global_load_dwordx2 v[21:22], v[21:22], off
	v_add_co_u32 v30, vcc_lo, s18, v30
	v_add_co_ci_u32_e64 v31, null, s19, v31, vcc_lo
	v_add_co_u32 v19, vcc_lo, v19, 8
	v_add_co_ci_u32_e64 v20, null, 0, v20, vcc_lo
	global_load_dwordx4 v[30:33], v[30:31], off
	v_cmp_le_i32_e32 vcc_lo, s17, v19
	s_or_b32 s29, vcc_lo, s29
	s_waitcnt vmcnt(1)
	v_cvt_f64_f32_e32 v[34:35], v21
	v_cvt_f64_f32_e32 v[21:22], v22
	s_waitcnt vmcnt(0)
	v_fma_f64 v[11:12], v[34:35], v[30:31], v[11:12]
	v_fma_f64 v[9:10], v[21:22], v[30:31], v[9:10]
	v_fma_f64 v[11:12], -v[21:22], v[32:33], v[11:12]
	v_fma_f64 v[9:10], v[34:35], v[32:33], v[9:10]
	s_andn2_b32 exec_lo, exec_lo, s29
	s_cbranch_execz .LBB102_10
.LBB102_15:                             ;   Parent Loop BB102_8 Depth=1
                                        ;     Parent Loop BB102_12 Depth=2
                                        ; =>    This Inner Loop Header: Depth=3
	s_and_b32 vcc_lo, exec_lo, s24
	s_cbranch_vccz .LBB102_17
; %bb.16:                               ;   in Loop: Header=BB102_15 Depth=3
	v_ashrrev_i32_e32 v22, 31, v29
	v_add_co_u32 v21, vcc_lo, v17, v29
	v_add_co_ci_u32_e64 v22, null, v18, v22, vcc_lo
	s_cbranch_execnz .LBB102_14
	s_branch .LBB102_18
.LBB102_17:                             ;   in Loop: Header=BB102_15 Depth=3
                                        ; implicit-def: $vgpr21_vgpr22
.LBB102_18:                             ;   in Loop: Header=BB102_15 Depth=3
	v_add_co_u32 v21, vcc_lo, v27, v19
	v_add_co_ci_u32_e64 v22, null, v28, v20, vcc_lo
	s_branch .LBB102_14
.LBB102_19:                             ;   in Loop: Header=BB102_8 Depth=1
	s_waitcnt lgkmcnt(3)
	ds_bpermute_b32 v17, v24, v11
	s_waitcnt lgkmcnt(3)
	ds_bpermute_b32 v18, v24, v12
	;; [unrolled: 2-line block ×4, first 2 shown]
	s_waitcnt lgkmcnt(2)
	v_add_f64 v[11:12], v[11:12], v[17:18]
	s_waitcnt lgkmcnt(0)
	v_add_f64 v[17:18], v[9:10], v[19:20]
	ds_bpermute_b32 v9, v25, v11
	ds_bpermute_b32 v10, v25, v12
	;; [unrolled: 1-line block ×4, first 2 shown]
	s_waitcnt lgkmcnt(2)
	v_add_f64 v[9:10], v[11:12], v[9:10]
	s_waitcnt lgkmcnt(0)
	v_add_f64 v[11:12], v[17:18], v[19:20]
	ds_bpermute_b32 v17, v26, v9
	ds_bpermute_b32 v18, v26, v10
	;; [unrolled: 1-line block ×4, first 2 shown]
	s_and_saveexec_b32 s2, s1
	s_cbranch_execz .LBB102_7
; %bb.20:                               ;   in Loop: Header=BB102_8 Depth=1
	s_waitcnt lgkmcnt(0)
	v_add_f64 v[11:12], v[11:12], v[19:20]
	v_add_f64 v[17:18], v[9:10], v[17:18]
	v_mul_f64 v[9:10], v[11:12], -v[3:4]
	v_mul_f64 v[11:12], v[1:2], v[11:12]
	v_fma_f64 v[9:10], v[1:2], v[17:18], v[9:10]
	v_fma_f64 v[11:12], v[3:4], v[17:18], v[11:12]
	v_add_nc_u32_e32 v17, s23, v13
	v_ashrrev_i32_e32 v18, 31, v17
	s_and_saveexec_b32 s3, s25
	s_xor_b32 s3, exec_lo, s3
	s_cbranch_execz .LBB102_22
; %bb.21:                               ;   in Loop: Header=BB102_8 Depth=1
	v_lshlrev_b64 v[17:18], 4, v[17:18]
	v_add_co_u32 v17, vcc_lo, s8, v17
	v_add_co_ci_u32_e64 v18, null, s9, v18, vcc_lo
	global_store_dwordx4 v[17:18], v[9:12], off
                                        ; implicit-def: $vgpr17
                                        ; implicit-def: $vgpr9_vgpr10
.LBB102_22:                             ;   in Loop: Header=BB102_8 Depth=1
	s_andn2_saveexec_b32 s3, s3
	s_cbranch_execz .LBB102_7
; %bb.23:                               ;   in Loop: Header=BB102_8 Depth=1
	v_lshlrev_b64 v[17:18], 4, v[17:18]
	v_add_co_u32 v21, vcc_lo, s8, v17
	v_add_co_ci_u32_e64 v22, null, s9, v18, vcc_lo
	global_load_dwordx4 v[17:20], v[21:22], off
	s_waitcnt vmcnt(0)
	v_fma_f64 v[9:10], v[5:6], v[17:18], v[9:10]
	v_fma_f64 v[11:12], v[7:8], v[17:18], v[11:12]
	v_fma_f64 v[9:10], -v[7:8], v[19:20], v[9:10]
	v_fma_f64 v[11:12], v[5:6], v[19:20], v[11:12]
	global_store_dwordx4 v[21:22], v[9:12], off
	s_branch .LBB102_7
.LBB102_24:
	s_endpgm
	.section	.rodata,"a",@progbits
	.p2align	6, 0x0
	.amdhsa_kernel _ZN9rocsparseL22bsrxmvn_general_kernelILj64ELj8E21rocsparse_complex_numIdEliS1_IfES2_S2_EEv20rocsparse_direction_NS_24const_host_device_scalarIT1_EET3_PKS8_PKT2_SD_SA_PKT4_S8_PKT5_S7_PT6_21rocsparse_index_base_b
		.amdhsa_group_segment_fixed_size 0
		.amdhsa_private_segment_fixed_size 0
		.amdhsa_kernarg_size 120
		.amdhsa_user_sgpr_count 6
		.amdhsa_user_sgpr_private_segment_buffer 1
		.amdhsa_user_sgpr_dispatch_ptr 0
		.amdhsa_user_sgpr_queue_ptr 0
		.amdhsa_user_sgpr_kernarg_segment_ptr 1
		.amdhsa_user_sgpr_dispatch_id 0
		.amdhsa_user_sgpr_flat_scratch_init 0
		.amdhsa_user_sgpr_private_segment_size 0
		.amdhsa_wavefront_size32 1
		.amdhsa_uses_dynamic_stack 0
		.amdhsa_system_sgpr_private_segment_wavefront_offset 0
		.amdhsa_system_sgpr_workgroup_id_x 1
		.amdhsa_system_sgpr_workgroup_id_y 0
		.amdhsa_system_sgpr_workgroup_id_z 0
		.amdhsa_system_sgpr_workgroup_info 0
		.amdhsa_system_vgpr_workitem_id 0
		.amdhsa_next_free_vgpr 36
		.amdhsa_next_free_sgpr 32
		.amdhsa_reserve_vcc 1
		.amdhsa_reserve_flat_scratch 0
		.amdhsa_float_round_mode_32 0
		.amdhsa_float_round_mode_16_64 0
		.amdhsa_float_denorm_mode_32 3
		.amdhsa_float_denorm_mode_16_64 3
		.amdhsa_dx10_clamp 1
		.amdhsa_ieee_mode 1
		.amdhsa_fp16_overflow 0
		.amdhsa_workgroup_processor_mode 1
		.amdhsa_memory_ordered 1
		.amdhsa_forward_progress 1
		.amdhsa_shared_vgpr_count 0
		.amdhsa_exception_fp_ieee_invalid_op 0
		.amdhsa_exception_fp_denorm_src 0
		.amdhsa_exception_fp_ieee_div_zero 0
		.amdhsa_exception_fp_ieee_overflow 0
		.amdhsa_exception_fp_ieee_underflow 0
		.amdhsa_exception_fp_ieee_inexact 0
		.amdhsa_exception_int_div_zero 0
	.end_amdhsa_kernel
	.section	.text._ZN9rocsparseL22bsrxmvn_general_kernelILj64ELj8E21rocsparse_complex_numIdEliS1_IfES2_S2_EEv20rocsparse_direction_NS_24const_host_device_scalarIT1_EET3_PKS8_PKT2_SD_SA_PKT4_S8_PKT5_S7_PT6_21rocsparse_index_base_b,"axG",@progbits,_ZN9rocsparseL22bsrxmvn_general_kernelILj64ELj8E21rocsparse_complex_numIdEliS1_IfES2_S2_EEv20rocsparse_direction_NS_24const_host_device_scalarIT1_EET3_PKS8_PKT2_SD_SA_PKT4_S8_PKT5_S7_PT6_21rocsparse_index_base_b,comdat
.Lfunc_end102:
	.size	_ZN9rocsparseL22bsrxmvn_general_kernelILj64ELj8E21rocsparse_complex_numIdEliS1_IfES2_S2_EEv20rocsparse_direction_NS_24const_host_device_scalarIT1_EET3_PKS8_PKT2_SD_SA_PKT4_S8_PKT5_S7_PT6_21rocsparse_index_base_b, .Lfunc_end102-_ZN9rocsparseL22bsrxmvn_general_kernelILj64ELj8E21rocsparse_complex_numIdEliS1_IfES2_S2_EEv20rocsparse_direction_NS_24const_host_device_scalarIT1_EET3_PKS8_PKT2_SD_SA_PKT4_S8_PKT5_S7_PT6_21rocsparse_index_base_b
                                        ; -- End function
	.set _ZN9rocsparseL22bsrxmvn_general_kernelILj64ELj8E21rocsparse_complex_numIdEliS1_IfES2_S2_EEv20rocsparse_direction_NS_24const_host_device_scalarIT1_EET3_PKS8_PKT2_SD_SA_PKT4_S8_PKT5_S7_PT6_21rocsparse_index_base_b.num_vgpr, 36
	.set _ZN9rocsparseL22bsrxmvn_general_kernelILj64ELj8E21rocsparse_complex_numIdEliS1_IfES2_S2_EEv20rocsparse_direction_NS_24const_host_device_scalarIT1_EET3_PKS8_PKT2_SD_SA_PKT4_S8_PKT5_S7_PT6_21rocsparse_index_base_b.num_agpr, 0
	.set _ZN9rocsparseL22bsrxmvn_general_kernelILj64ELj8E21rocsparse_complex_numIdEliS1_IfES2_S2_EEv20rocsparse_direction_NS_24const_host_device_scalarIT1_EET3_PKS8_PKT2_SD_SA_PKT4_S8_PKT5_S7_PT6_21rocsparse_index_base_b.numbered_sgpr, 32
	.set _ZN9rocsparseL22bsrxmvn_general_kernelILj64ELj8E21rocsparse_complex_numIdEliS1_IfES2_S2_EEv20rocsparse_direction_NS_24const_host_device_scalarIT1_EET3_PKS8_PKT2_SD_SA_PKT4_S8_PKT5_S7_PT6_21rocsparse_index_base_b.num_named_barrier, 0
	.set _ZN9rocsparseL22bsrxmvn_general_kernelILj64ELj8E21rocsparse_complex_numIdEliS1_IfES2_S2_EEv20rocsparse_direction_NS_24const_host_device_scalarIT1_EET3_PKS8_PKT2_SD_SA_PKT4_S8_PKT5_S7_PT6_21rocsparse_index_base_b.private_seg_size, 0
	.set _ZN9rocsparseL22bsrxmvn_general_kernelILj64ELj8E21rocsparse_complex_numIdEliS1_IfES2_S2_EEv20rocsparse_direction_NS_24const_host_device_scalarIT1_EET3_PKS8_PKT2_SD_SA_PKT4_S8_PKT5_S7_PT6_21rocsparse_index_base_b.uses_vcc, 1
	.set _ZN9rocsparseL22bsrxmvn_general_kernelILj64ELj8E21rocsparse_complex_numIdEliS1_IfES2_S2_EEv20rocsparse_direction_NS_24const_host_device_scalarIT1_EET3_PKS8_PKT2_SD_SA_PKT4_S8_PKT5_S7_PT6_21rocsparse_index_base_b.uses_flat_scratch, 0
	.set _ZN9rocsparseL22bsrxmvn_general_kernelILj64ELj8E21rocsparse_complex_numIdEliS1_IfES2_S2_EEv20rocsparse_direction_NS_24const_host_device_scalarIT1_EET3_PKS8_PKT2_SD_SA_PKT4_S8_PKT5_S7_PT6_21rocsparse_index_base_b.has_dyn_sized_stack, 0
	.set _ZN9rocsparseL22bsrxmvn_general_kernelILj64ELj8E21rocsparse_complex_numIdEliS1_IfES2_S2_EEv20rocsparse_direction_NS_24const_host_device_scalarIT1_EET3_PKS8_PKT2_SD_SA_PKT4_S8_PKT5_S7_PT6_21rocsparse_index_base_b.has_recursion, 0
	.set _ZN9rocsparseL22bsrxmvn_general_kernelILj64ELj8E21rocsparse_complex_numIdEliS1_IfES2_S2_EEv20rocsparse_direction_NS_24const_host_device_scalarIT1_EET3_PKS8_PKT2_SD_SA_PKT4_S8_PKT5_S7_PT6_21rocsparse_index_base_b.has_indirect_call, 0
	.section	.AMDGPU.csdata,"",@progbits
; Kernel info:
; codeLenInByte = 1396
; TotalNumSgprs: 34
; NumVgprs: 36
; ScratchSize: 0
; MemoryBound: 0
; FloatMode: 240
; IeeeMode: 1
; LDSByteSize: 0 bytes/workgroup (compile time only)
; SGPRBlocks: 0
; VGPRBlocks: 4
; NumSGPRsForWavesPerEU: 34
; NumVGPRsForWavesPerEU: 36
; Occupancy: 16
; WaveLimiterHint : 1
; COMPUTE_PGM_RSRC2:SCRATCH_EN: 0
; COMPUTE_PGM_RSRC2:USER_SGPR: 6
; COMPUTE_PGM_RSRC2:TRAP_HANDLER: 0
; COMPUTE_PGM_RSRC2:TGID_X_EN: 1
; COMPUTE_PGM_RSRC2:TGID_Y_EN: 0
; COMPUTE_PGM_RSRC2:TGID_Z_EN: 0
; COMPUTE_PGM_RSRC2:TIDIG_COMP_CNT: 0
	.section	.text._ZN9rocsparseL22bsrxmvn_general_kernelILj256ELj16E21rocsparse_complex_numIdEliS1_IfES2_S2_EEv20rocsparse_direction_NS_24const_host_device_scalarIT1_EET3_PKS8_PKT2_SD_SA_PKT4_S8_PKT5_S7_PT6_21rocsparse_index_base_b,"axG",@progbits,_ZN9rocsparseL22bsrxmvn_general_kernelILj256ELj16E21rocsparse_complex_numIdEliS1_IfES2_S2_EEv20rocsparse_direction_NS_24const_host_device_scalarIT1_EET3_PKS8_PKT2_SD_SA_PKT4_S8_PKT5_S7_PT6_21rocsparse_index_base_b,comdat
	.globl	_ZN9rocsparseL22bsrxmvn_general_kernelILj256ELj16E21rocsparse_complex_numIdEliS1_IfES2_S2_EEv20rocsparse_direction_NS_24const_host_device_scalarIT1_EET3_PKS8_PKT2_SD_SA_PKT4_S8_PKT5_S7_PT6_21rocsparse_index_base_b ; -- Begin function _ZN9rocsparseL22bsrxmvn_general_kernelILj256ELj16E21rocsparse_complex_numIdEliS1_IfES2_S2_EEv20rocsparse_direction_NS_24const_host_device_scalarIT1_EET3_PKS8_PKT2_SD_SA_PKT4_S8_PKT5_S7_PT6_21rocsparse_index_base_b
	.p2align	8
	.type	_ZN9rocsparseL22bsrxmvn_general_kernelILj256ELj16E21rocsparse_complex_numIdEliS1_IfES2_S2_EEv20rocsparse_direction_NS_24const_host_device_scalarIT1_EET3_PKS8_PKT2_SD_SA_PKT4_S8_PKT5_S7_PT6_21rocsparse_index_base_b,@function
_ZN9rocsparseL22bsrxmvn_general_kernelILj256ELj16E21rocsparse_complex_numIdEliS1_IfES2_S2_EEv20rocsparse_direction_NS_24const_host_device_scalarIT1_EET3_PKS8_PKT2_SD_SA_PKT4_S8_PKT5_S7_PT6_21rocsparse_index_base_b: ; @_ZN9rocsparseL22bsrxmvn_general_kernelILj256ELj16E21rocsparse_complex_numIdEliS1_IfES2_S2_EEv20rocsparse_direction_NS_24const_host_device_scalarIT1_EET3_PKS8_PKT2_SD_SA_PKT4_S8_PKT5_S7_PT6_21rocsparse_index_base_b
; %bb.0:
	s_clause 0x1
	s_load_dwordx2 s[16:17], s[4:5], 0x70
	s_load_dwordx2 s[0:1], s[4:5], 0x8
	s_add_u32 s7, s4, 8
	s_addc_u32 s8, s5, 0
	s_add_u32 s9, s4, 0x58
	s_addc_u32 s10, s5, 0
	s_load_dwordx2 s[2:3], s[4:5], 0x58
	s_waitcnt lgkmcnt(0)
	s_bitcmp1_b32 s17, 0
	s_cselect_b32 s0, s7, s0
	s_cselect_b32 s1, s8, s1
	v_mov_b32_e32 v1, s0
	v_mov_b32_e32 v2, s1
	s_cselect_b32 s0, s9, s2
	s_cselect_b32 s1, s10, s3
	v_mov_b32_e32 v5, s0
	v_mov_b32_e32 v6, s1
	flat_load_dwordx4 v[1:4], v[1:2]
	flat_load_dwordx4 v[5:8], v[5:6]
	s_waitcnt vmcnt(1) lgkmcnt(1)
	v_cmp_eq_f64_e32 vcc_lo, 0, v[1:2]
	v_cmp_eq_f64_e64 s0, 0, v[3:4]
	s_and_b32 s2, vcc_lo, s0
	s_mov_b32 s0, -1
	s_and_saveexec_b32 s1, s2
	s_cbranch_execz .LBB103_2
; %bb.1:
	s_waitcnt vmcnt(0) lgkmcnt(0)
	v_cmp_neq_f64_e32 vcc_lo, 1.0, v[5:6]
	v_cmp_neq_f64_e64 s0, 0, v[7:8]
	s_or_b32 s0, vcc_lo, s0
	s_orn2_b32 s0, s0, exec_lo
.LBB103_2:
	s_or_b32 exec_lo, exec_lo, s1
	s_and_saveexec_b32 s1, s0
	s_cbranch_execz .LBB103_24
; %bb.3:
	s_load_dwordx2 s[0:1], s[4:5], 0x20
	s_waitcnt lgkmcnt(0)
	s_cmp_eq_u64 s[0:1], 0
	s_cbranch_scc1 .LBB103_5
; %bb.4:
	s_ashr_i32 s7, s6, 31
	s_lshl_b64 s[2:3], s[6:7], 2
	s_add_u32 s0, s0, s2
	s_addc_u32 s1, s1, s3
	s_load_dword s0, s[0:1], 0x0
	s_waitcnt lgkmcnt(0)
	s_sub_i32 s6, s0, s16
.LBB103_5:
	s_load_dword s17, s[4:5], 0x48
	v_lshrrev_b32_e32 v13, 4, v0
	s_waitcnt lgkmcnt(0)
	v_cmp_gt_i32_e32 vcc_lo, s17, v13
	s_and_b32 exec_lo, exec_lo, vcc_lo
	s_cbranch_execz .LBB103_24
; %bb.6:
	s_load_dwordx8 s[8:15], s[4:5], 0x28
	s_ashr_i32 s7, s6, 31
	v_mbcnt_lo_u32_b32 v9, -1, 0
	s_lshl_b64 s[26:27], s[6:7], 3
	s_load_dword s30, s[4:5], 0x0
	s_mul_i32 s25, s6, s17
	s_waitcnt vmcnt(0)
	v_cmp_eq_f64_e32 vcc_lo, 0, v[5:6]
	v_xor_b32_e32 v10, 8, v9
	v_xor_b32_e32 v11, 4, v9
	;; [unrolled: 1-line block ×3, first 2 shown]
	v_cmp_eq_f64_e64 s2, 0, v[7:8]
	v_xor_b32_e32 v14, 1, v9
	v_and_b32_e32 v15, 15, v0
	s_mul_hi_u32 s23, s17, s17
	s_mul_i32 s24, s17, s17
	v_mul_lo_u32 v0, s17, v13
	v_mov_b32_e32 v16, 0
	v_mul_lo_u32 v23, s17, v15
	v_cmp_gt_u32_e64 s0, s17, v15
	s_mov_b32 s22, 0
	s_waitcnt lgkmcnt(0)
	s_add_u32 s28, s8, s26
	s_addc_u32 s29, s9, s27
	s_load_dwordx2 s[20:21], s[28:29], 0x0
	s_clause 0x1
	s_load_dwordx2 s[8:9], s[4:5], 0x68
	s_load_dwordx2 s[18:19], s[4:5], 0x50
	s_waitcnt lgkmcnt(0)
	s_sub_u32 s4, s20, s16
	s_subb_u32 s5, s21, 0
	s_add_u32 s1, s28, 8
	s_addc_u32 s3, s29, 0
	s_add_u32 s6, s10, s26
	s_addc_u32 s7, s11, s27
	s_cmp_eq_u64 s[10:11], 0
	s_mul_hi_u32 s28, s4, s24
	s_cselect_b32 s7, s3, s7
	s_cselect_b32 s6, s1, s6
	v_cmp_gt_i32_e64 s3, 32, v10
	s_load_dwordx2 s[26:27], s[6:7], 0x0
	v_cmp_eq_u32_e64 s1, 15, v15
	s_mul_i32 s29, s5, s24
	s_mul_i32 s10, s4, s24
	v_cndmask_b32_e64 v10, v9, v10, s3
	v_cmp_gt_i32_e64 s3, 32, v11
	v_lshlrev_b32_e32 v24, 2, v10
	v_cndmask_b32_e64 v11, v9, v11, s3
	v_cmp_gt_i32_e64 s3, 32, v12
	v_lshlrev_b32_e32 v25, 2, v11
	v_cndmask_b32_e64 v12, v9, v12, s3
	v_cmp_gt_i32_e64 s3, 32, v14
	s_waitcnt lgkmcnt(0)
	s_sub_u32 s6, s26, s16
	s_subb_u32 s7, s27, 0
	v_cndmask_b32_e64 v9, v9, v14, s3
	s_mul_i32 s3, s4, s23
	s_cmp_lg_u32 s30, 0
	v_cmp_lt_i64_e64 s11, s[20:21], s[26:27]
	v_lshlrev_b32_e32 v26, 2, v12
	v_lshlrev_b32_e32 v27, 2, v9
	s_cselect_b32 s20, -1, 0
	s_add_i32 s3, s28, s3
	s_and_b32 s21, vcc_lo, s2
	s_add_i32 s26, s3, s29
	s_lshl_b32 s27, s17, 4
	s_branch .LBB103_8
.LBB103_7:                              ;   in Loop: Header=BB103_8 Depth=1
	s_or_b32 exec_lo, exec_lo, s2
	v_add_nc_u32_e32 v13, 16, v13
	v_add_nc_u32_e32 v0, s27, v0
	v_cmp_le_i32_e32 vcc_lo, s17, v13
	s_or_b32 s22, vcc_lo, s22
	s_andn2_b32 exec_lo, exec_lo, s22
	s_cbranch_execz .LBB103_24
.LBB103_8:                              ; =>This Loop Header: Depth=1
                                        ;     Child Loop BB103_12 Depth 2
                                        ;       Child Loop BB103_15 Depth 3
	v_mov_b32_e32 v9, 0
	v_mov_b32_e32 v11, 0
	;; [unrolled: 1-line block ×4, first 2 shown]
	s_andn2_b32 vcc_lo, exec_lo, s11
	s_cbranch_vccnz .LBB103_19
; %bb.9:                                ;   in Loop: Header=BB103_8 Depth=1
	v_ashrrev_i32_e32 v11, 31, v0
	v_add_co_u32 v28, vcc_lo, s10, v0
	v_mov_b32_e32 v9, 0
	v_mov_b32_e32 v10, 0
	v_add_co_ci_u32_e64 v29, null, s26, v11, vcc_lo
	v_mov_b32_e32 v11, 0
	v_mov_b32_e32 v12, 0
	v_ashrrev_i32_e32 v14, 31, v13
	s_mov_b64 s[2:3], s[4:5]
	s_branch .LBB103_12
.LBB103_10:                             ;   in Loop: Header=BB103_12 Depth=2
	s_or_b32 exec_lo, exec_lo, s29
.LBB103_11:                             ;   in Loop: Header=BB103_12 Depth=2
	s_or_b32 exec_lo, exec_lo, s28
	s_add_u32 s2, s2, 1
	s_addc_u32 s3, s3, 0
	v_add_co_u32 v28, vcc_lo, v28, s24
	v_cmp_ge_i64_e64 s28, s[2:3], s[6:7]
	v_add_co_ci_u32_e64 v29, null, s23, v29, vcc_lo
	s_and_b32 vcc_lo, exec_lo, s28
	s_cbranch_vccnz .LBB103_19
.LBB103_12:                             ;   Parent Loop BB103_8 Depth=1
                                        ; =>  This Loop Header: Depth=2
                                        ;       Child Loop BB103_15 Depth 3
	s_and_saveexec_b32 s28, s0
	s_cbranch_execz .LBB103_11
; %bb.13:                               ;   in Loop: Header=BB103_12 Depth=2
	s_lshl_b64 s[30:31], s[2:3], 2
	s_waitcnt lgkmcnt(2)
	v_mad_u64_u32 v[17:18], null, s24, s2, v[13:14]
	s_add_u32 s30, s12, s30
	s_addc_u32 s31, s13, s31
	s_waitcnt lgkmcnt(0)
	v_mov_b32_e32 v20, v16
	s_load_dword s29, s[30:31], 0x0
	s_mul_i32 s30, s23, s2
	s_mul_i32 s31, s24, s3
	v_mov_b32_e32 v30, v23
	v_mov_b32_e32 v19, v15
	v_add3_u32 v18, s31, s30, v18
	s_waitcnt lgkmcnt(0)
	s_sub_i32 s29, s29, s16
	s_mul_i32 s30, s29, s17
	s_mov_b32 s29, 0
	s_branch .LBB103_15
.LBB103_14:                             ;   in Loop: Header=BB103_15 Depth=3
	v_lshlrev_b64 v[21:22], 3, v[21:22]
	v_add_nc_u32_e32 v31, s30, v19
	v_add_nc_u32_e32 v30, s27, v30
	v_ashrrev_i32_e32 v32, 31, v31
	v_add_co_u32 v21, vcc_lo, s14, v21
	v_add_co_ci_u32_e64 v22, null, s15, v22, vcc_lo
	v_lshlrev_b64 v[31:32], 4, v[31:32]
	global_load_dwordx2 v[21:22], v[21:22], off
	v_add_co_u32 v31, vcc_lo, s18, v31
	v_add_co_ci_u32_e64 v32, null, s19, v32, vcc_lo
	v_add_co_u32 v19, vcc_lo, v19, 16
	v_add_co_ci_u32_e64 v20, null, 0, v20, vcc_lo
	global_load_dwordx4 v[31:34], v[31:32], off
	v_cmp_le_i32_e32 vcc_lo, s17, v19
	s_or_b32 s29, vcc_lo, s29
	s_waitcnt vmcnt(1)
	v_cvt_f64_f32_e32 v[35:36], v21
	v_cvt_f64_f32_e32 v[21:22], v22
	s_waitcnt vmcnt(0)
	v_fma_f64 v[11:12], v[35:36], v[31:32], v[11:12]
	v_fma_f64 v[9:10], v[21:22], v[31:32], v[9:10]
	v_fma_f64 v[11:12], -v[21:22], v[33:34], v[11:12]
	v_fma_f64 v[9:10], v[35:36], v[33:34], v[9:10]
	s_andn2_b32 exec_lo, exec_lo, s29
	s_cbranch_execz .LBB103_10
.LBB103_15:                             ;   Parent Loop BB103_8 Depth=1
                                        ;     Parent Loop BB103_12 Depth=2
                                        ; =>    This Inner Loop Header: Depth=3
	s_and_b32 vcc_lo, exec_lo, s20
	s_cbranch_vccz .LBB103_17
; %bb.16:                               ;   in Loop: Header=BB103_15 Depth=3
	v_ashrrev_i32_e32 v22, 31, v30
	v_add_co_u32 v21, vcc_lo, v17, v30
	v_add_co_ci_u32_e64 v22, null, v18, v22, vcc_lo
	s_cbranch_execnz .LBB103_14
	s_branch .LBB103_18
.LBB103_17:                             ;   in Loop: Header=BB103_15 Depth=3
                                        ; implicit-def: $vgpr21_vgpr22
.LBB103_18:                             ;   in Loop: Header=BB103_15 Depth=3
	v_add_co_u32 v21, vcc_lo, v28, v19
	v_add_co_ci_u32_e64 v22, null, v29, v20, vcc_lo
	s_branch .LBB103_14
.LBB103_19:                             ;   in Loop: Header=BB103_8 Depth=1
	s_waitcnt lgkmcnt(3)
	ds_bpermute_b32 v17, v24, v11
	s_waitcnt lgkmcnt(3)
	ds_bpermute_b32 v18, v24, v12
	;; [unrolled: 2-line block ×4, first 2 shown]
	s_waitcnt lgkmcnt(2)
	v_add_f64 v[11:12], v[11:12], v[17:18]
	s_waitcnt lgkmcnt(0)
	v_add_f64 v[9:10], v[9:10], v[19:20]
	ds_bpermute_b32 v17, v25, v11
	ds_bpermute_b32 v18, v25, v12
	ds_bpermute_b32 v19, v25, v9
	ds_bpermute_b32 v20, v25, v10
	s_waitcnt lgkmcnt(2)
	v_add_f64 v[11:12], v[11:12], v[17:18]
	s_waitcnt lgkmcnt(0)
	v_add_f64 v[17:18], v[9:10], v[19:20]
	ds_bpermute_b32 v9, v26, v11
	ds_bpermute_b32 v10, v26, v12
	ds_bpermute_b32 v19, v26, v17
	ds_bpermute_b32 v20, v26, v18
	;; [unrolled: 8-line block ×3, first 2 shown]
	s_and_saveexec_b32 s2, s1
	s_cbranch_execz .LBB103_7
; %bb.20:                               ;   in Loop: Header=BB103_8 Depth=1
	s_waitcnt lgkmcnt(0)
	v_add_f64 v[11:12], v[11:12], v[19:20]
	v_add_f64 v[17:18], v[9:10], v[17:18]
	v_mul_f64 v[9:10], v[11:12], -v[3:4]
	v_mul_f64 v[11:12], v[1:2], v[11:12]
	v_fma_f64 v[9:10], v[1:2], v[17:18], v[9:10]
	v_fma_f64 v[11:12], v[3:4], v[17:18], v[11:12]
	v_add_nc_u32_e32 v17, s25, v13
	v_ashrrev_i32_e32 v18, 31, v17
	s_and_saveexec_b32 s3, s21
	s_xor_b32 s3, exec_lo, s3
	s_cbranch_execz .LBB103_22
; %bb.21:                               ;   in Loop: Header=BB103_8 Depth=1
	v_lshlrev_b64 v[17:18], 4, v[17:18]
	v_add_co_u32 v17, vcc_lo, s8, v17
	v_add_co_ci_u32_e64 v18, null, s9, v18, vcc_lo
	global_store_dwordx4 v[17:18], v[9:12], off
                                        ; implicit-def: $vgpr17
                                        ; implicit-def: $vgpr9_vgpr10
.LBB103_22:                             ;   in Loop: Header=BB103_8 Depth=1
	s_andn2_saveexec_b32 s3, s3
	s_cbranch_execz .LBB103_7
; %bb.23:                               ;   in Loop: Header=BB103_8 Depth=1
	v_lshlrev_b64 v[17:18], 4, v[17:18]
	v_add_co_u32 v21, vcc_lo, s8, v17
	v_add_co_ci_u32_e64 v22, null, s9, v18, vcc_lo
	global_load_dwordx4 v[17:20], v[21:22], off
	s_waitcnt vmcnt(0)
	v_fma_f64 v[9:10], v[5:6], v[17:18], v[9:10]
	v_fma_f64 v[11:12], v[7:8], v[17:18], v[11:12]
	v_fma_f64 v[9:10], -v[7:8], v[19:20], v[9:10]
	v_fma_f64 v[11:12], v[5:6], v[19:20], v[11:12]
	global_store_dwordx4 v[21:22], v[9:12], off
	s_branch .LBB103_7
.LBB103_24:
	s_endpgm
	.section	.rodata,"a",@progbits
	.p2align	6, 0x0
	.amdhsa_kernel _ZN9rocsparseL22bsrxmvn_general_kernelILj256ELj16E21rocsparse_complex_numIdEliS1_IfES2_S2_EEv20rocsparse_direction_NS_24const_host_device_scalarIT1_EET3_PKS8_PKT2_SD_SA_PKT4_S8_PKT5_S7_PT6_21rocsparse_index_base_b
		.amdhsa_group_segment_fixed_size 0
		.amdhsa_private_segment_fixed_size 0
		.amdhsa_kernarg_size 120
		.amdhsa_user_sgpr_count 6
		.amdhsa_user_sgpr_private_segment_buffer 1
		.amdhsa_user_sgpr_dispatch_ptr 0
		.amdhsa_user_sgpr_queue_ptr 0
		.amdhsa_user_sgpr_kernarg_segment_ptr 1
		.amdhsa_user_sgpr_dispatch_id 0
		.amdhsa_user_sgpr_flat_scratch_init 0
		.amdhsa_user_sgpr_private_segment_size 0
		.amdhsa_wavefront_size32 1
		.amdhsa_uses_dynamic_stack 0
		.amdhsa_system_sgpr_private_segment_wavefront_offset 0
		.amdhsa_system_sgpr_workgroup_id_x 1
		.amdhsa_system_sgpr_workgroup_id_y 0
		.amdhsa_system_sgpr_workgroup_id_z 0
		.amdhsa_system_sgpr_workgroup_info 0
		.amdhsa_system_vgpr_workitem_id 0
		.amdhsa_next_free_vgpr 37
		.amdhsa_next_free_sgpr 32
		.amdhsa_reserve_vcc 1
		.amdhsa_reserve_flat_scratch 0
		.amdhsa_float_round_mode_32 0
		.amdhsa_float_round_mode_16_64 0
		.amdhsa_float_denorm_mode_32 3
		.amdhsa_float_denorm_mode_16_64 3
		.amdhsa_dx10_clamp 1
		.amdhsa_ieee_mode 1
		.amdhsa_fp16_overflow 0
		.amdhsa_workgroup_processor_mode 1
		.amdhsa_memory_ordered 1
		.amdhsa_forward_progress 1
		.amdhsa_shared_vgpr_count 0
		.amdhsa_exception_fp_ieee_invalid_op 0
		.amdhsa_exception_fp_denorm_src 0
		.amdhsa_exception_fp_ieee_div_zero 0
		.amdhsa_exception_fp_ieee_overflow 0
		.amdhsa_exception_fp_ieee_underflow 0
		.amdhsa_exception_fp_ieee_inexact 0
		.amdhsa_exception_int_div_zero 0
	.end_amdhsa_kernel
	.section	.text._ZN9rocsparseL22bsrxmvn_general_kernelILj256ELj16E21rocsparse_complex_numIdEliS1_IfES2_S2_EEv20rocsparse_direction_NS_24const_host_device_scalarIT1_EET3_PKS8_PKT2_SD_SA_PKT4_S8_PKT5_S7_PT6_21rocsparse_index_base_b,"axG",@progbits,_ZN9rocsparseL22bsrxmvn_general_kernelILj256ELj16E21rocsparse_complex_numIdEliS1_IfES2_S2_EEv20rocsparse_direction_NS_24const_host_device_scalarIT1_EET3_PKS8_PKT2_SD_SA_PKT4_S8_PKT5_S7_PT6_21rocsparse_index_base_b,comdat
.Lfunc_end103:
	.size	_ZN9rocsparseL22bsrxmvn_general_kernelILj256ELj16E21rocsparse_complex_numIdEliS1_IfES2_S2_EEv20rocsparse_direction_NS_24const_host_device_scalarIT1_EET3_PKS8_PKT2_SD_SA_PKT4_S8_PKT5_S7_PT6_21rocsparse_index_base_b, .Lfunc_end103-_ZN9rocsparseL22bsrxmvn_general_kernelILj256ELj16E21rocsparse_complex_numIdEliS1_IfES2_S2_EEv20rocsparse_direction_NS_24const_host_device_scalarIT1_EET3_PKS8_PKT2_SD_SA_PKT4_S8_PKT5_S7_PT6_21rocsparse_index_base_b
                                        ; -- End function
	.set _ZN9rocsparseL22bsrxmvn_general_kernelILj256ELj16E21rocsparse_complex_numIdEliS1_IfES2_S2_EEv20rocsparse_direction_NS_24const_host_device_scalarIT1_EET3_PKS8_PKT2_SD_SA_PKT4_S8_PKT5_S7_PT6_21rocsparse_index_base_b.num_vgpr, 37
	.set _ZN9rocsparseL22bsrxmvn_general_kernelILj256ELj16E21rocsparse_complex_numIdEliS1_IfES2_S2_EEv20rocsparse_direction_NS_24const_host_device_scalarIT1_EET3_PKS8_PKT2_SD_SA_PKT4_S8_PKT5_S7_PT6_21rocsparse_index_base_b.num_agpr, 0
	.set _ZN9rocsparseL22bsrxmvn_general_kernelILj256ELj16E21rocsparse_complex_numIdEliS1_IfES2_S2_EEv20rocsparse_direction_NS_24const_host_device_scalarIT1_EET3_PKS8_PKT2_SD_SA_PKT4_S8_PKT5_S7_PT6_21rocsparse_index_base_b.numbered_sgpr, 32
	.set _ZN9rocsparseL22bsrxmvn_general_kernelILj256ELj16E21rocsparse_complex_numIdEliS1_IfES2_S2_EEv20rocsparse_direction_NS_24const_host_device_scalarIT1_EET3_PKS8_PKT2_SD_SA_PKT4_S8_PKT5_S7_PT6_21rocsparse_index_base_b.num_named_barrier, 0
	.set _ZN9rocsparseL22bsrxmvn_general_kernelILj256ELj16E21rocsparse_complex_numIdEliS1_IfES2_S2_EEv20rocsparse_direction_NS_24const_host_device_scalarIT1_EET3_PKS8_PKT2_SD_SA_PKT4_S8_PKT5_S7_PT6_21rocsparse_index_base_b.private_seg_size, 0
	.set _ZN9rocsparseL22bsrxmvn_general_kernelILj256ELj16E21rocsparse_complex_numIdEliS1_IfES2_S2_EEv20rocsparse_direction_NS_24const_host_device_scalarIT1_EET3_PKS8_PKT2_SD_SA_PKT4_S8_PKT5_S7_PT6_21rocsparse_index_base_b.uses_vcc, 1
	.set _ZN9rocsparseL22bsrxmvn_general_kernelILj256ELj16E21rocsparse_complex_numIdEliS1_IfES2_S2_EEv20rocsparse_direction_NS_24const_host_device_scalarIT1_EET3_PKS8_PKT2_SD_SA_PKT4_S8_PKT5_S7_PT6_21rocsparse_index_base_b.uses_flat_scratch, 0
	.set _ZN9rocsparseL22bsrxmvn_general_kernelILj256ELj16E21rocsparse_complex_numIdEliS1_IfES2_S2_EEv20rocsparse_direction_NS_24const_host_device_scalarIT1_EET3_PKS8_PKT2_SD_SA_PKT4_S8_PKT5_S7_PT6_21rocsparse_index_base_b.has_dyn_sized_stack, 0
	.set _ZN9rocsparseL22bsrxmvn_general_kernelILj256ELj16E21rocsparse_complex_numIdEliS1_IfES2_S2_EEv20rocsparse_direction_NS_24const_host_device_scalarIT1_EET3_PKS8_PKT2_SD_SA_PKT4_S8_PKT5_S7_PT6_21rocsparse_index_base_b.has_recursion, 0
	.set _ZN9rocsparseL22bsrxmvn_general_kernelILj256ELj16E21rocsparse_complex_numIdEliS1_IfES2_S2_EEv20rocsparse_direction_NS_24const_host_device_scalarIT1_EET3_PKS8_PKT2_SD_SA_PKT4_S8_PKT5_S7_PT6_21rocsparse_index_base_b.has_indirect_call, 0
	.section	.AMDGPU.csdata,"",@progbits
; Kernel info:
; codeLenInByte = 1476
; TotalNumSgprs: 34
; NumVgprs: 37
; ScratchSize: 0
; MemoryBound: 0
; FloatMode: 240
; IeeeMode: 1
; LDSByteSize: 0 bytes/workgroup (compile time only)
; SGPRBlocks: 0
; VGPRBlocks: 4
; NumSGPRsForWavesPerEU: 34
; NumVGPRsForWavesPerEU: 37
; Occupancy: 16
; WaveLimiterHint : 1
; COMPUTE_PGM_RSRC2:SCRATCH_EN: 0
; COMPUTE_PGM_RSRC2:USER_SGPR: 6
; COMPUTE_PGM_RSRC2:TRAP_HANDLER: 0
; COMPUTE_PGM_RSRC2:TGID_X_EN: 1
; COMPUTE_PGM_RSRC2:TGID_Y_EN: 0
; COMPUTE_PGM_RSRC2:TGID_Z_EN: 0
; COMPUTE_PGM_RSRC2:TIDIG_COMP_CNT: 0
	.section	.text._ZN9rocsparseL22bsrxmvn_general_kernelILj1024ELj32E21rocsparse_complex_numIdEliS1_IfES2_S2_EEv20rocsparse_direction_NS_24const_host_device_scalarIT1_EET3_PKS8_PKT2_SD_SA_PKT4_S8_PKT5_S7_PT6_21rocsparse_index_base_b,"axG",@progbits,_ZN9rocsparseL22bsrxmvn_general_kernelILj1024ELj32E21rocsparse_complex_numIdEliS1_IfES2_S2_EEv20rocsparse_direction_NS_24const_host_device_scalarIT1_EET3_PKS8_PKT2_SD_SA_PKT4_S8_PKT5_S7_PT6_21rocsparse_index_base_b,comdat
	.globl	_ZN9rocsparseL22bsrxmvn_general_kernelILj1024ELj32E21rocsparse_complex_numIdEliS1_IfES2_S2_EEv20rocsparse_direction_NS_24const_host_device_scalarIT1_EET3_PKS8_PKT2_SD_SA_PKT4_S8_PKT5_S7_PT6_21rocsparse_index_base_b ; -- Begin function _ZN9rocsparseL22bsrxmvn_general_kernelILj1024ELj32E21rocsparse_complex_numIdEliS1_IfES2_S2_EEv20rocsparse_direction_NS_24const_host_device_scalarIT1_EET3_PKS8_PKT2_SD_SA_PKT4_S8_PKT5_S7_PT6_21rocsparse_index_base_b
	.p2align	8
	.type	_ZN9rocsparseL22bsrxmvn_general_kernelILj1024ELj32E21rocsparse_complex_numIdEliS1_IfES2_S2_EEv20rocsparse_direction_NS_24const_host_device_scalarIT1_EET3_PKS8_PKT2_SD_SA_PKT4_S8_PKT5_S7_PT6_21rocsparse_index_base_b,@function
_ZN9rocsparseL22bsrxmvn_general_kernelILj1024ELj32E21rocsparse_complex_numIdEliS1_IfES2_S2_EEv20rocsparse_direction_NS_24const_host_device_scalarIT1_EET3_PKS8_PKT2_SD_SA_PKT4_S8_PKT5_S7_PT6_21rocsparse_index_base_b: ; @_ZN9rocsparseL22bsrxmvn_general_kernelILj1024ELj32E21rocsparse_complex_numIdEliS1_IfES2_S2_EEv20rocsparse_direction_NS_24const_host_device_scalarIT1_EET3_PKS8_PKT2_SD_SA_PKT4_S8_PKT5_S7_PT6_21rocsparse_index_base_b
; %bb.0:
	s_clause 0x1
	s_load_dwordx2 s[16:17], s[4:5], 0x70
	s_load_dwordx2 s[0:1], s[4:5], 0x8
	s_add_u32 s7, s4, 8
	s_addc_u32 s8, s5, 0
	s_add_u32 s9, s4, 0x58
	s_addc_u32 s10, s5, 0
	s_load_dwordx2 s[2:3], s[4:5], 0x58
	s_waitcnt lgkmcnt(0)
	s_bitcmp1_b32 s17, 0
	s_cselect_b32 s0, s7, s0
	s_cselect_b32 s1, s8, s1
	v_mov_b32_e32 v1, s0
	v_mov_b32_e32 v2, s1
	s_cselect_b32 s0, s9, s2
	s_cselect_b32 s1, s10, s3
	v_mov_b32_e32 v5, s0
	v_mov_b32_e32 v6, s1
	flat_load_dwordx4 v[1:4], v[1:2]
	flat_load_dwordx4 v[5:8], v[5:6]
	s_waitcnt vmcnt(1) lgkmcnt(1)
	v_cmp_eq_f64_e32 vcc_lo, 0, v[1:2]
	v_cmp_eq_f64_e64 s0, 0, v[3:4]
	s_and_b32 s2, vcc_lo, s0
	s_mov_b32 s0, -1
	s_and_saveexec_b32 s1, s2
	s_cbranch_execz .LBB104_2
; %bb.1:
	s_waitcnt vmcnt(0) lgkmcnt(0)
	v_cmp_neq_f64_e32 vcc_lo, 1.0, v[5:6]
	v_cmp_neq_f64_e64 s0, 0, v[7:8]
	s_or_b32 s0, vcc_lo, s0
	s_orn2_b32 s0, s0, exec_lo
.LBB104_2:
	s_or_b32 exec_lo, exec_lo, s1
	s_and_saveexec_b32 s1, s0
	s_cbranch_execz .LBB104_24
; %bb.3:
	s_load_dwordx2 s[0:1], s[4:5], 0x20
	s_waitcnt lgkmcnt(0)
	s_cmp_eq_u64 s[0:1], 0
	s_cbranch_scc1 .LBB104_5
; %bb.4:
	s_ashr_i32 s7, s6, 31
	s_lshl_b64 s[2:3], s[6:7], 2
	s_add_u32 s0, s0, s2
	s_addc_u32 s1, s1, s3
	s_load_dword s0, s[0:1], 0x0
	s_waitcnt lgkmcnt(0)
	s_sub_i32 s6, s0, s16
.LBB104_5:
	s_load_dword s17, s[4:5], 0x48
	v_lshrrev_b32_e32 v13, 5, v0
	s_waitcnt lgkmcnt(0)
	v_cmp_gt_i32_e32 vcc_lo, s17, v13
	s_and_b32 exec_lo, exec_lo, vcc_lo
	s_cbranch_execz .LBB104_24
; %bb.6:
	s_load_dwordx8 s[8:15], s[4:5], 0x28
	s_ashr_i32 s7, s6, 31
	v_mbcnt_lo_u32_b32 v9, -1, 0
	s_lshl_b64 s[26:27], s[6:7], 3
	s_load_dword s30, s[4:5], 0x0
	s_mul_i32 s25, s6, s17
	s_waitcnt vmcnt(0)
	v_cmp_eq_f64_e32 vcc_lo, 0, v[5:6]
	v_xor_b32_e32 v10, 16, v9
	v_xor_b32_e32 v11, 8, v9
	;; [unrolled: 1-line block ×4, first 2 shown]
	v_cmp_eq_f64_e64 s2, 0, v[7:8]
	v_xor_b32_e32 v18, 1, v9
	v_and_b32_e32 v15, 31, v0
	v_mov_b32_e32 v14, 0
	s_mul_hi_u32 s23, s17, s17
	s_mul_i32 s24, s17, s17
	v_mul_lo_u32 v0, s17, v13
	v_mul_lo_u32 v23, s17, v15
	v_cmp_gt_u32_e64 s0, s17, v15
	s_waitcnt lgkmcnt(0)
	s_add_u32 s28, s8, s26
	s_addc_u32 s29, s9, s27
	v_cmp_eq_u32_e64 s1, 31, v15
	s_load_dwordx2 s[20:21], s[28:29], 0x0
	s_clause 0x1
	s_load_dwordx2 s[8:9], s[4:5], 0x68
	s_load_dwordx2 s[18:19], s[4:5], 0x50
	v_mov_b32_e32 v16, v14
	s_mov_b32 s22, 0
	s_waitcnt lgkmcnt(0)
	s_sub_u32 s4, s20, s16
	s_subb_u32 s5, s21, 0
	s_add_u32 s3, s28, 8
	s_addc_u32 s6, s29, 0
	s_add_u32 s26, s10, s26
	s_addc_u32 s7, s11, s27
	s_cmp_eq_u64 s[10:11], 0
	s_mul_hi_u32 s28, s4, s24
	s_cselect_b32 s7, s6, s7
	s_cselect_b32 s6, s3, s26
	v_cmp_gt_i32_e64 s3, 32, v10
	s_load_dwordx2 s[26:27], s[6:7], 0x0
	s_mul_i32 s29, s5, s24
	s_mul_i32 s10, s4, s24
	v_cndmask_b32_e64 v10, v9, v10, s3
	v_cmp_gt_i32_e64 s3, 32, v11
	v_lshlrev_b32_e32 v24, 2, v10
	v_cndmask_b32_e64 v11, v9, v11, s3
	v_cmp_gt_i32_e64 s3, 32, v12
	v_lshlrev_b32_e32 v25, 2, v11
	v_cndmask_b32_e64 v12, v9, v12, s3
	v_cmp_gt_i32_e64 s3, 32, v17
	s_waitcnt lgkmcnt(0)
	s_sub_u32 s6, s26, s16
	s_subb_u32 s7, s27, 0
	v_cndmask_b32_e64 v17, v9, v17, s3
	v_cmp_gt_i32_e64 s3, 32, v18
	s_cmp_lg_u32 s30, 0
	v_cmp_lt_i64_e64 s11, s[20:21], s[26:27]
	v_lshlrev_b32_e32 v26, 2, v12
	v_lshlrev_b32_e32 v27, 2, v17
	v_cndmask_b32_e64 v9, v9, v18, s3
	s_mul_i32 s3, s4, s23
	s_cselect_b32 s20, -1, 0
	s_add_i32 s3, s28, s3
	s_and_b32 s21, vcc_lo, s2
	v_lshlrev_b32_e32 v28, 2, v9
	s_add_i32 s26, s3, s29
	s_lshl_b32 s27, s17, 5
	s_branch .LBB104_8
.LBB104_7:                              ;   in Loop: Header=BB104_8 Depth=1
	s_or_b32 exec_lo, exec_lo, s2
	v_add_nc_u32_e32 v13, 32, v13
	v_add_nc_u32_e32 v0, s27, v0
	v_cmp_le_i32_e32 vcc_lo, s17, v13
	s_or_b32 s22, vcc_lo, s22
	s_andn2_b32 exec_lo, exec_lo, s22
	s_cbranch_execz .LBB104_24
.LBB104_8:                              ; =>This Loop Header: Depth=1
                                        ;     Child Loop BB104_12 Depth 2
                                        ;       Child Loop BB104_15 Depth 3
	v_mov_b32_e32 v9, 0
	v_mov_b32_e32 v11, 0
	;; [unrolled: 1-line block ×4, first 2 shown]
	s_andn2_b32 vcc_lo, exec_lo, s11
	s_cbranch_vccnz .LBB104_19
; %bb.9:                                ;   in Loop: Header=BB104_8 Depth=1
	s_waitcnt lgkmcnt(3)
	v_ashrrev_i32_e32 v17, 31, v0
	v_add_co_u32 v29, vcc_lo, s10, v0
	v_mov_b32_e32 v9, 0
	v_mov_b32_e32 v11, 0
	v_mov_b32_e32 v10, 0
	v_mov_b32_e32 v12, 0
	v_add_co_ci_u32_e64 v30, null, s26, v17, vcc_lo
	s_mov_b64 s[2:3], s[4:5]
	s_branch .LBB104_12
.LBB104_10:                             ;   in Loop: Header=BB104_12 Depth=2
	s_or_b32 exec_lo, exec_lo, s29
.LBB104_11:                             ;   in Loop: Header=BB104_12 Depth=2
	s_or_b32 exec_lo, exec_lo, s28
	s_add_u32 s2, s2, 1
	s_addc_u32 s3, s3, 0
	v_add_co_u32 v29, vcc_lo, v29, s24
	v_cmp_ge_i64_e64 s28, s[2:3], s[6:7]
	v_add_co_ci_u32_e64 v30, null, s23, v30, vcc_lo
	s_and_b32 vcc_lo, exec_lo, s28
	s_cbranch_vccnz .LBB104_19
.LBB104_12:                             ;   Parent Loop BB104_8 Depth=1
                                        ; =>  This Loop Header: Depth=2
                                        ;       Child Loop BB104_15 Depth 3
	s_and_saveexec_b32 s28, s0
	s_cbranch_execz .LBB104_11
; %bb.13:                               ;   in Loop: Header=BB104_12 Depth=2
	s_lshl_b64 s[30:31], s[2:3], 2
	s_waitcnt lgkmcnt(2)
	v_mad_u64_u32 v[17:18], null, s24, s2, v[13:14]
	s_add_u32 s30, s12, s30
	s_addc_u32 s31, s13, s31
	s_waitcnt lgkmcnt(0)
	v_mov_b32_e32 v20, v16
	s_load_dword s29, s[30:31], 0x0
	s_mul_i32 s30, s23, s2
	s_mul_i32 s31, s24, s3
	v_mov_b32_e32 v31, v23
	v_mov_b32_e32 v19, v15
	v_add3_u32 v18, s31, s30, v18
	s_waitcnt lgkmcnt(0)
	s_sub_i32 s29, s29, s16
	s_mul_i32 s30, s29, s17
	s_mov_b32 s29, 0
	s_branch .LBB104_15
.LBB104_14:                             ;   in Loop: Header=BB104_15 Depth=3
	v_lshlrev_b64 v[21:22], 3, v[21:22]
	v_add_nc_u32_e32 v32, s30, v19
	v_add_nc_u32_e32 v31, s27, v31
	v_ashrrev_i32_e32 v33, 31, v32
	v_add_co_u32 v21, vcc_lo, s14, v21
	v_add_co_ci_u32_e64 v22, null, s15, v22, vcc_lo
	v_lshlrev_b64 v[32:33], 4, v[32:33]
	global_load_dwordx2 v[21:22], v[21:22], off
	v_add_co_u32 v32, vcc_lo, s18, v32
	v_add_co_ci_u32_e64 v33, null, s19, v33, vcc_lo
	v_add_co_u32 v19, vcc_lo, v19, 32
	v_add_co_ci_u32_e64 v20, null, 0, v20, vcc_lo
	global_load_dwordx4 v[32:35], v[32:33], off
	v_cmp_le_i32_e32 vcc_lo, s17, v19
	s_or_b32 s29, vcc_lo, s29
	s_waitcnt vmcnt(1)
	v_cvt_f64_f32_e32 v[36:37], v21
	v_cvt_f64_f32_e32 v[21:22], v22
	s_waitcnt vmcnt(0)
	v_fma_f64 v[11:12], v[36:37], v[32:33], v[11:12]
	v_fma_f64 v[9:10], v[21:22], v[32:33], v[9:10]
	v_fma_f64 v[11:12], -v[21:22], v[34:35], v[11:12]
	v_fma_f64 v[9:10], v[36:37], v[34:35], v[9:10]
	s_andn2_b32 exec_lo, exec_lo, s29
	s_cbranch_execz .LBB104_10
.LBB104_15:                             ;   Parent Loop BB104_8 Depth=1
                                        ;     Parent Loop BB104_12 Depth=2
                                        ; =>    This Inner Loop Header: Depth=3
	s_and_b32 vcc_lo, exec_lo, s20
	s_cbranch_vccz .LBB104_17
; %bb.16:                               ;   in Loop: Header=BB104_15 Depth=3
	v_ashrrev_i32_e32 v22, 31, v31
	v_add_co_u32 v21, vcc_lo, v17, v31
	v_add_co_ci_u32_e64 v22, null, v18, v22, vcc_lo
	s_cbranch_execnz .LBB104_14
	s_branch .LBB104_18
.LBB104_17:                             ;   in Loop: Header=BB104_15 Depth=3
                                        ; implicit-def: $vgpr21_vgpr22
.LBB104_18:                             ;   in Loop: Header=BB104_15 Depth=3
	v_add_co_u32 v21, vcc_lo, v29, v19
	v_add_co_ci_u32_e64 v22, null, v30, v20, vcc_lo
	s_branch .LBB104_14
.LBB104_19:                             ;   in Loop: Header=BB104_8 Depth=1
	s_waitcnt lgkmcnt(3)
	ds_bpermute_b32 v17, v24, v11
	s_waitcnt lgkmcnt(3)
	ds_bpermute_b32 v18, v24, v12
	;; [unrolled: 2-line block ×4, first 2 shown]
	s_waitcnt lgkmcnt(2)
	v_add_f64 v[11:12], v[11:12], v[17:18]
	s_waitcnt lgkmcnt(0)
	v_add_f64 v[9:10], v[9:10], v[19:20]
	ds_bpermute_b32 v17, v25, v11
	ds_bpermute_b32 v18, v25, v12
	ds_bpermute_b32 v19, v25, v9
	ds_bpermute_b32 v20, v25, v10
	s_waitcnt lgkmcnt(2)
	v_add_f64 v[11:12], v[11:12], v[17:18]
	s_waitcnt lgkmcnt(0)
	v_add_f64 v[9:10], v[9:10], v[19:20]
	ds_bpermute_b32 v17, v26, v11
	ds_bpermute_b32 v18, v26, v12
	ds_bpermute_b32 v19, v26, v9
	ds_bpermute_b32 v20, v26, v10
	;; [unrolled: 8-line block ×4, first 2 shown]
	s_and_saveexec_b32 s2, s1
	s_cbranch_execz .LBB104_7
; %bb.20:                               ;   in Loop: Header=BB104_8 Depth=1
	s_waitcnt lgkmcnt(0)
	v_add_f64 v[11:12], v[11:12], v[19:20]
	v_add_f64 v[17:18], v[9:10], v[17:18]
	v_mul_f64 v[9:10], v[11:12], -v[3:4]
	v_mul_f64 v[11:12], v[1:2], v[11:12]
	v_fma_f64 v[9:10], v[1:2], v[17:18], v[9:10]
	v_fma_f64 v[11:12], v[3:4], v[17:18], v[11:12]
	v_add_nc_u32_e32 v17, s25, v13
	v_ashrrev_i32_e32 v18, 31, v17
	s_and_saveexec_b32 s3, s21
	s_xor_b32 s3, exec_lo, s3
	s_cbranch_execz .LBB104_22
; %bb.21:                               ;   in Loop: Header=BB104_8 Depth=1
	v_lshlrev_b64 v[17:18], 4, v[17:18]
	v_add_co_u32 v17, vcc_lo, s8, v17
	v_add_co_ci_u32_e64 v18, null, s9, v18, vcc_lo
	global_store_dwordx4 v[17:18], v[9:12], off
                                        ; implicit-def: $vgpr17
                                        ; implicit-def: $vgpr9_vgpr10
.LBB104_22:                             ;   in Loop: Header=BB104_8 Depth=1
	s_andn2_saveexec_b32 s3, s3
	s_cbranch_execz .LBB104_7
; %bb.23:                               ;   in Loop: Header=BB104_8 Depth=1
	v_lshlrev_b64 v[17:18], 4, v[17:18]
	v_add_co_u32 v21, vcc_lo, s8, v17
	v_add_co_ci_u32_e64 v22, null, s9, v18, vcc_lo
	global_load_dwordx4 v[17:20], v[21:22], off
	s_waitcnt vmcnt(0)
	v_fma_f64 v[9:10], v[5:6], v[17:18], v[9:10]
	v_fma_f64 v[11:12], v[7:8], v[17:18], v[11:12]
	v_fma_f64 v[9:10], -v[7:8], v[19:20], v[9:10]
	v_fma_f64 v[11:12], v[5:6], v[19:20], v[11:12]
	global_store_dwordx4 v[21:22], v[9:12], off
	s_branch .LBB104_7
.LBB104_24:
	s_endpgm
	.section	.rodata,"a",@progbits
	.p2align	6, 0x0
	.amdhsa_kernel _ZN9rocsparseL22bsrxmvn_general_kernelILj1024ELj32E21rocsparse_complex_numIdEliS1_IfES2_S2_EEv20rocsparse_direction_NS_24const_host_device_scalarIT1_EET3_PKS8_PKT2_SD_SA_PKT4_S8_PKT5_S7_PT6_21rocsparse_index_base_b
		.amdhsa_group_segment_fixed_size 0
		.amdhsa_private_segment_fixed_size 0
		.amdhsa_kernarg_size 120
		.amdhsa_user_sgpr_count 6
		.amdhsa_user_sgpr_private_segment_buffer 1
		.amdhsa_user_sgpr_dispatch_ptr 0
		.amdhsa_user_sgpr_queue_ptr 0
		.amdhsa_user_sgpr_kernarg_segment_ptr 1
		.amdhsa_user_sgpr_dispatch_id 0
		.amdhsa_user_sgpr_flat_scratch_init 0
		.amdhsa_user_sgpr_private_segment_size 0
		.amdhsa_wavefront_size32 1
		.amdhsa_uses_dynamic_stack 0
		.amdhsa_system_sgpr_private_segment_wavefront_offset 0
		.amdhsa_system_sgpr_workgroup_id_x 1
		.amdhsa_system_sgpr_workgroup_id_y 0
		.amdhsa_system_sgpr_workgroup_id_z 0
		.amdhsa_system_sgpr_workgroup_info 0
		.amdhsa_system_vgpr_workitem_id 0
		.amdhsa_next_free_vgpr 38
		.amdhsa_next_free_sgpr 32
		.amdhsa_reserve_vcc 1
		.amdhsa_reserve_flat_scratch 0
		.amdhsa_float_round_mode_32 0
		.amdhsa_float_round_mode_16_64 0
		.amdhsa_float_denorm_mode_32 3
		.amdhsa_float_denorm_mode_16_64 3
		.amdhsa_dx10_clamp 1
		.amdhsa_ieee_mode 1
		.amdhsa_fp16_overflow 0
		.amdhsa_workgroup_processor_mode 1
		.amdhsa_memory_ordered 1
		.amdhsa_forward_progress 1
		.amdhsa_shared_vgpr_count 0
		.amdhsa_exception_fp_ieee_invalid_op 0
		.amdhsa_exception_fp_denorm_src 0
		.amdhsa_exception_fp_ieee_div_zero 0
		.amdhsa_exception_fp_ieee_overflow 0
		.amdhsa_exception_fp_ieee_underflow 0
		.amdhsa_exception_fp_ieee_inexact 0
		.amdhsa_exception_int_div_zero 0
	.end_amdhsa_kernel
	.section	.text._ZN9rocsparseL22bsrxmvn_general_kernelILj1024ELj32E21rocsparse_complex_numIdEliS1_IfES2_S2_EEv20rocsparse_direction_NS_24const_host_device_scalarIT1_EET3_PKS8_PKT2_SD_SA_PKT4_S8_PKT5_S7_PT6_21rocsparse_index_base_b,"axG",@progbits,_ZN9rocsparseL22bsrxmvn_general_kernelILj1024ELj32E21rocsparse_complex_numIdEliS1_IfES2_S2_EEv20rocsparse_direction_NS_24const_host_device_scalarIT1_EET3_PKS8_PKT2_SD_SA_PKT4_S8_PKT5_S7_PT6_21rocsparse_index_base_b,comdat
.Lfunc_end104:
	.size	_ZN9rocsparseL22bsrxmvn_general_kernelILj1024ELj32E21rocsparse_complex_numIdEliS1_IfES2_S2_EEv20rocsparse_direction_NS_24const_host_device_scalarIT1_EET3_PKS8_PKT2_SD_SA_PKT4_S8_PKT5_S7_PT6_21rocsparse_index_base_b, .Lfunc_end104-_ZN9rocsparseL22bsrxmvn_general_kernelILj1024ELj32E21rocsparse_complex_numIdEliS1_IfES2_S2_EEv20rocsparse_direction_NS_24const_host_device_scalarIT1_EET3_PKS8_PKT2_SD_SA_PKT4_S8_PKT5_S7_PT6_21rocsparse_index_base_b
                                        ; -- End function
	.set _ZN9rocsparseL22bsrxmvn_general_kernelILj1024ELj32E21rocsparse_complex_numIdEliS1_IfES2_S2_EEv20rocsparse_direction_NS_24const_host_device_scalarIT1_EET3_PKS8_PKT2_SD_SA_PKT4_S8_PKT5_S7_PT6_21rocsparse_index_base_b.num_vgpr, 38
	.set _ZN9rocsparseL22bsrxmvn_general_kernelILj1024ELj32E21rocsparse_complex_numIdEliS1_IfES2_S2_EEv20rocsparse_direction_NS_24const_host_device_scalarIT1_EET3_PKS8_PKT2_SD_SA_PKT4_S8_PKT5_S7_PT6_21rocsparse_index_base_b.num_agpr, 0
	.set _ZN9rocsparseL22bsrxmvn_general_kernelILj1024ELj32E21rocsparse_complex_numIdEliS1_IfES2_S2_EEv20rocsparse_direction_NS_24const_host_device_scalarIT1_EET3_PKS8_PKT2_SD_SA_PKT4_S8_PKT5_S7_PT6_21rocsparse_index_base_b.numbered_sgpr, 32
	.set _ZN9rocsparseL22bsrxmvn_general_kernelILj1024ELj32E21rocsparse_complex_numIdEliS1_IfES2_S2_EEv20rocsparse_direction_NS_24const_host_device_scalarIT1_EET3_PKS8_PKT2_SD_SA_PKT4_S8_PKT5_S7_PT6_21rocsparse_index_base_b.num_named_barrier, 0
	.set _ZN9rocsparseL22bsrxmvn_general_kernelILj1024ELj32E21rocsparse_complex_numIdEliS1_IfES2_S2_EEv20rocsparse_direction_NS_24const_host_device_scalarIT1_EET3_PKS8_PKT2_SD_SA_PKT4_S8_PKT5_S7_PT6_21rocsparse_index_base_b.private_seg_size, 0
	.set _ZN9rocsparseL22bsrxmvn_general_kernelILj1024ELj32E21rocsparse_complex_numIdEliS1_IfES2_S2_EEv20rocsparse_direction_NS_24const_host_device_scalarIT1_EET3_PKS8_PKT2_SD_SA_PKT4_S8_PKT5_S7_PT6_21rocsparse_index_base_b.uses_vcc, 1
	.set _ZN9rocsparseL22bsrxmvn_general_kernelILj1024ELj32E21rocsparse_complex_numIdEliS1_IfES2_S2_EEv20rocsparse_direction_NS_24const_host_device_scalarIT1_EET3_PKS8_PKT2_SD_SA_PKT4_S8_PKT5_S7_PT6_21rocsparse_index_base_b.uses_flat_scratch, 0
	.set _ZN9rocsparseL22bsrxmvn_general_kernelILj1024ELj32E21rocsparse_complex_numIdEliS1_IfES2_S2_EEv20rocsparse_direction_NS_24const_host_device_scalarIT1_EET3_PKS8_PKT2_SD_SA_PKT4_S8_PKT5_S7_PT6_21rocsparse_index_base_b.has_dyn_sized_stack, 0
	.set _ZN9rocsparseL22bsrxmvn_general_kernelILj1024ELj32E21rocsparse_complex_numIdEliS1_IfES2_S2_EEv20rocsparse_direction_NS_24const_host_device_scalarIT1_EET3_PKS8_PKT2_SD_SA_PKT4_S8_PKT5_S7_PT6_21rocsparse_index_base_b.has_recursion, 0
	.set _ZN9rocsparseL22bsrxmvn_general_kernelILj1024ELj32E21rocsparse_complex_numIdEliS1_IfES2_S2_EEv20rocsparse_direction_NS_24const_host_device_scalarIT1_EET3_PKS8_PKT2_SD_SA_PKT4_S8_PKT5_S7_PT6_21rocsparse_index_base_b.has_indirect_call, 0
	.section	.AMDGPU.csdata,"",@progbits
; Kernel info:
; codeLenInByte = 1560
; TotalNumSgprs: 34
; NumVgprs: 38
; ScratchSize: 0
; MemoryBound: 0
; FloatMode: 240
; IeeeMode: 1
; LDSByteSize: 0 bytes/workgroup (compile time only)
; SGPRBlocks: 0
; VGPRBlocks: 4
; NumSGPRsForWavesPerEU: 34
; NumVGPRsForWavesPerEU: 38
; Occupancy: 16
; WaveLimiterHint : 1
; COMPUTE_PGM_RSRC2:SCRATCH_EN: 0
; COMPUTE_PGM_RSRC2:USER_SGPR: 6
; COMPUTE_PGM_RSRC2:TRAP_HANDLER: 0
; COMPUTE_PGM_RSRC2:TGID_X_EN: 1
; COMPUTE_PGM_RSRC2:TGID_Y_EN: 0
; COMPUTE_PGM_RSRC2:TGID_Z_EN: 0
; COMPUTE_PGM_RSRC2:TIDIG_COMP_CNT: 0
	.section	.text._ZN9rocsparseL22bsrxmvn_general_kernelILj64ELj8E21rocsparse_complex_numIdEllS1_IfES2_S2_EEv20rocsparse_direction_NS_24const_host_device_scalarIT1_EET3_PKS8_PKT2_SD_SA_PKT4_S8_PKT5_S7_PT6_21rocsparse_index_base_b,"axG",@progbits,_ZN9rocsparseL22bsrxmvn_general_kernelILj64ELj8E21rocsparse_complex_numIdEllS1_IfES2_S2_EEv20rocsparse_direction_NS_24const_host_device_scalarIT1_EET3_PKS8_PKT2_SD_SA_PKT4_S8_PKT5_S7_PT6_21rocsparse_index_base_b,comdat
	.globl	_ZN9rocsparseL22bsrxmvn_general_kernelILj64ELj8E21rocsparse_complex_numIdEllS1_IfES2_S2_EEv20rocsparse_direction_NS_24const_host_device_scalarIT1_EET3_PKS8_PKT2_SD_SA_PKT4_S8_PKT5_S7_PT6_21rocsparse_index_base_b ; -- Begin function _ZN9rocsparseL22bsrxmvn_general_kernelILj64ELj8E21rocsparse_complex_numIdEllS1_IfES2_S2_EEv20rocsparse_direction_NS_24const_host_device_scalarIT1_EET3_PKS8_PKT2_SD_SA_PKT4_S8_PKT5_S7_PT6_21rocsparse_index_base_b
	.p2align	8
	.type	_ZN9rocsparseL22bsrxmvn_general_kernelILj64ELj8E21rocsparse_complex_numIdEllS1_IfES2_S2_EEv20rocsparse_direction_NS_24const_host_device_scalarIT1_EET3_PKS8_PKT2_SD_SA_PKT4_S8_PKT5_S7_PT6_21rocsparse_index_base_b,@function
_ZN9rocsparseL22bsrxmvn_general_kernelILj64ELj8E21rocsparse_complex_numIdEllS1_IfES2_S2_EEv20rocsparse_direction_NS_24const_host_device_scalarIT1_EET3_PKS8_PKT2_SD_SA_PKT4_S8_PKT5_S7_PT6_21rocsparse_index_base_b: ; @_ZN9rocsparseL22bsrxmvn_general_kernelILj64ELj8E21rocsparse_complex_numIdEllS1_IfES2_S2_EEv20rocsparse_direction_NS_24const_host_device_scalarIT1_EET3_PKS8_PKT2_SD_SA_PKT4_S8_PKT5_S7_PT6_21rocsparse_index_base_b
; %bb.0:
	s_clause 0x1
	s_load_dwordx2 s[16:17], s[4:5], 0x70
	s_load_dwordx2 s[0:1], s[4:5], 0x8
	s_add_u32 s7, s4, 8
	s_addc_u32 s8, s5, 0
	s_add_u32 s9, s4, 0x58
	s_addc_u32 s10, s5, 0
	s_load_dwordx2 s[2:3], s[4:5], 0x58
	s_waitcnt lgkmcnt(0)
	s_bitcmp1_b32 s17, 0
	s_cselect_b32 s0, s7, s0
	s_cselect_b32 s1, s8, s1
	v_mov_b32_e32 v1, s0
	v_mov_b32_e32 v2, s1
	s_cselect_b32 s0, s9, s2
	s_cselect_b32 s1, s10, s3
	v_mov_b32_e32 v5, s0
	v_mov_b32_e32 v6, s1
	flat_load_dwordx4 v[1:4], v[1:2]
	flat_load_dwordx4 v[5:8], v[5:6]
	s_waitcnt vmcnt(1) lgkmcnt(1)
	v_cmp_eq_f64_e32 vcc_lo, 0, v[1:2]
	v_cmp_eq_f64_e64 s0, 0, v[3:4]
	s_and_b32 s2, vcc_lo, s0
	s_mov_b32 s0, -1
	s_and_saveexec_b32 s1, s2
	s_cbranch_execz .LBB105_2
; %bb.1:
	s_waitcnt vmcnt(0) lgkmcnt(0)
	v_cmp_neq_f64_e32 vcc_lo, 1.0, v[5:6]
	v_cmp_neq_f64_e64 s0, 0, v[7:8]
	s_or_b32 s0, vcc_lo, s0
	s_orn2_b32 s0, s0, exec_lo
.LBB105_2:
	s_or_b32 exec_lo, exec_lo, s1
	s_and_saveexec_b32 s1, s0
	s_cbranch_execz .LBB105_24
; %bb.3:
	s_load_dwordx2 s[0:1], s[4:5], 0x20
	s_mov_b32 s7, 0
	s_waitcnt lgkmcnt(0)
	s_cmp_eq_u64 s[0:1], 0
	s_cbranch_scc1 .LBB105_5
; %bb.4:
	s_lshl_b64 s[2:3], s[6:7], 3
	s_add_u32 s0, s0, s2
	s_addc_u32 s1, s1, s3
	s_load_dwordx2 s[0:1], s[0:1], 0x0
	s_waitcnt lgkmcnt(0)
	s_sub_u32 s6, s0, s16
	s_subb_u32 s7, s1, 0
.LBB105_5:
	s_load_dwordx2 s[18:19], s[4:5], 0x48
	v_lshrrev_b32_e32 v13, 3, v0
	v_mov_b32_e32 v14, 0
	s_waitcnt lgkmcnt(0)
	v_cmp_gt_i64_e32 vcc_lo, s[18:19], v[13:14]
	s_and_b32 exec_lo, exec_lo, vcc_lo
	s_cbranch_execz .LBB105_24
; %bb.6:
	s_load_dwordx8 s[8:15], s[4:5], 0x28
	s_lshl_b64 s[24:25], s[6:7], 3
	v_and_b32_e32 v15, 7, v0
	v_mbcnt_lo_u32_b32 v0, -1, 0
	s_load_dword s29, s[4:5], 0x0
	s_mul_i32 s30, s6, s19
	s_mul_hi_u32 s31, s6, s18
	s_mul_i32 s28, s6, s18
	v_xor_b32_e32 v9, 4, v0
	s_mul_i32 s33, s7, s18
	v_xor_b32_e32 v10, 2, v0
	v_xor_b32_e32 v11, 1, v0
	s_waitcnt vmcnt(0)
	v_cmp_eq_f64_e32 vcc_lo, 0, v[5:6]
	v_cmp_eq_f64_e64 s2, 0, v[7:8]
	v_lshlrev_b32_e32 v12, 4, v15
	v_mov_b32_e32 v16, v14
	s_mul_i32 s34, s18, s19
	s_mul_hi_u32 s35, s18, s18
	v_cmp_eq_u32_e64 s1, 7, v15
	s_mov_b32 s17, 0
	s_waitcnt lgkmcnt(0)
	s_add_u32 s26, s8, s24
	s_addc_u32 s27, s9, s25
	v_cmp_gt_u64_e64 s0, s[18:19], v[15:16]
	s_load_dwordx2 s[20:21], s[26:27], 0x0
	s_clause 0x1
	s_load_dwordx2 s[8:9], s[4:5], 0x68
	s_load_dwordx2 s[22:23], s[4:5], 0x50
	s_waitcnt lgkmcnt(0)
	s_sub_u32 s4, s20, s16
	s_subb_u32 s5, s21, 0
	s_add_u32 s3, s26, 8
	s_addc_u32 s6, s27, 0
	s_add_u32 s24, s10, s24
	s_addc_u32 s7, s11, s25
	s_cmp_eq_u64 s[10:11], 0
	s_mul_i32 s27, s18, s18
	s_cselect_b32 s7, s6, s7
	s_cselect_b32 s6, s3, s24
	v_cmp_gt_i32_e64 s3, 32, v9
	s_load_dwordx2 s[10:11], s[6:7], 0x0
	s_mul_i32 s6, s18, s5
	v_cndmask_b32_e64 v17, v0, v9, s3
	v_cmp_gt_i32_e64 s3, 32, v10
	v_cndmask_b32_e64 v18, v0, v10, s3
	v_cmp_gt_i32_e64 s3, 32, v11
	v_mad_u64_u32 v[9:10], null, s18, s4, v[13:14]
	v_lshlrev_b32_e32 v29, 2, v18
	v_cndmask_b32_e64 v11, v0, v11, s3
	s_mul_i32 s3, s19, s4
	v_lshlrev_b32_e32 v0, 2, v17
	v_add3_u32 v10, s6, s3, v10
	v_lshlrev_b32_e32 v30, 2, v11
	v_add_co_u32 v11, s3, s22, v12
	v_add_co_ci_u32_e64 v12, null, s23, 0, s3
	s_waitcnt lgkmcnt(0)
	s_sub_u32 s6, s10, s16
	s_subb_u32 s7, s11, 0
	v_mul_lo_u32 v21, s19, v9
	v_mad_u64_u32 v[17:18], null, s18, v9, 0
	v_mul_lo_u32 v9, s18, v10
	s_cmp_lg_u32 s29, 0
	v_add_co_u32 v19, s3, v11, 8
	v_add_co_ci_u32_e64 v20, null, 0, v12, s3
	s_cselect_b32 s3, -1, 0
	s_add_i32 s22, s31, s30
	s_and_b32 s23, vcc_lo, s2
	s_add_i32 s29, s22, s33
	v_cmp_lt_i64_e64 s22, s[20:21], s[10:11]
	s_lshl_b64 s[10:11], s[28:29], 4
	v_add3_u32 v18, v18, v9, v21
	s_add_u32 s24, s8, s10
	s_addc_u32 s25, s9, s11
	s_add_i32 s2, s35, s34
	s_lshl_b64 s[8:9], s[18:19], 4
	s_lshl_b64 s[10:11], s[18:19], 3
	s_add_i32 s26, s2, s34
	s_branch .LBB105_8
.LBB105_7:                              ;   in Loop: Header=BB105_8 Depth=1
	s_or_b32 exec_lo, exec_lo, s2
	v_add_co_u32 v13, vcc_lo, v13, 8
	v_add_co_ci_u32_e64 v14, null, 0, v14, vcc_lo
	v_add_co_u32 v17, s2, v17, s10
	v_add_co_ci_u32_e64 v18, null, s11, v18, s2
	v_cmp_le_i64_e32 vcc_lo, s[18:19], v[13:14]
	s_or_b32 s17, vcc_lo, s17
	s_andn2_b32 exec_lo, exec_lo, s17
	s_cbranch_execz .LBB105_24
.LBB105_8:                              ; =>This Loop Header: Depth=1
                                        ;     Child Loop BB105_12 Depth 2
                                        ;       Child Loop BB105_15 Depth 3
	v_mov_b32_e32 v9, 0
	v_mov_b32_e32 v11, 0
	;; [unrolled: 1-line block ×4, first 2 shown]
	s_andn2_b32 vcc_lo, exec_lo, s22
	s_cbranch_vccnz .LBB105_19
; %bb.9:                                ;   in Loop: Header=BB105_8 Depth=1
	v_mov_b32_e32 v9, 0
	v_mov_b32_e32 v11, 0
	s_waitcnt lgkmcnt(2)
	v_mov_b32_e32 v22, v18
	v_mov_b32_e32 v10, 0
	;; [unrolled: 1-line block ×4, first 2 shown]
	s_mov_b64 s[20:21], s[4:5]
	s_branch .LBB105_12
.LBB105_10:                             ;   in Loop: Header=BB105_12 Depth=2
	s_or_b32 exec_lo, exec_lo, s30
.LBB105_11:                             ;   in Loop: Header=BB105_12 Depth=2
	s_or_b32 exec_lo, exec_lo, s28
	s_add_u32 s20, s20, 1
	s_addc_u32 s21, s21, 0
	v_add_co_u32 v21, vcc_lo, v21, s27
	v_cmp_ge_i64_e64 s2, s[20:21], s[6:7]
	v_add_co_ci_u32_e64 v22, null, s26, v22, vcc_lo
	s_and_b32 vcc_lo, exec_lo, s2
	s_cbranch_vccnz .LBB105_19
.LBB105_12:                             ;   Parent Loop BB105_8 Depth=1
                                        ; =>  This Loop Header: Depth=2
                                        ;       Child Loop BB105_15 Depth 3
	s_and_saveexec_b32 s28, s0
	s_cbranch_execz .LBB105_11
; %bb.13:                               ;   in Loop: Header=BB105_12 Depth=2
	s_lshl_b64 s[30:31], s[20:21], 3
	s_mul_i32 s29, s20, s19
	s_add_u32 s30, s12, s30
	s_addc_u32 s31, s13, s31
	v_mov_b32_e32 v26, v16
	s_load_dwordx2 s[30:31], s[30:31], 0x0
	v_mov_b32_e32 v25, v15
	s_mul_i32 s33, s21, s18
	s_waitcnt lgkmcnt(0)
	s_sub_u32 s2, s30, s16
	s_subb_u32 s31, s31, 0
	v_mad_u64_u32 v[23:24], null, s8, s2, v[19:20]
	s_mul_i32 s2, s9, s2
	s_mul_i32 s31, s8, s31
	s_mul_hi_u32 s30, s20, s18
	s_add_i32 s29, s30, s29
	s_mov_b32 s30, 0
	v_add3_u32 v24, s31, s2, v24
	s_add_i32 s29, s29, s33
	s_mul_i32 s31, s20, s18
	s_branch .LBB105_15
.LBB105_14:                             ;   in Loop: Header=BB105_15 Depth=3
	v_lshlrev_b64 v[27:28], 3, v[27:28]
	v_add_co_u32 v27, vcc_lo, s14, v27
	v_add_co_ci_u32_e64 v28, null, s15, v28, vcc_lo
	v_add_co_u32 v25, vcc_lo, v25, 8
	v_add_co_ci_u32_e64 v26, null, 0, v26, vcc_lo
	global_load_dwordx2 v[27:28], v[27:28], off
	global_load_dwordx4 v[31:34], v[23:24], off offset:-8
	v_add_co_u32 v23, s2, 0x80, v23
	v_cmp_le_i64_e32 vcc_lo, s[18:19], v[25:26]
	v_add_co_ci_u32_e64 v24, null, 0, v24, s2
	s_or_b32 s30, vcc_lo, s30
	s_waitcnt vmcnt(1)
	v_cvt_f64_f32_e32 v[35:36], v27
	v_cvt_f64_f32_e32 v[27:28], v28
	s_waitcnt vmcnt(0)
	v_fma_f64 v[11:12], v[35:36], v[31:32], v[11:12]
	v_fma_f64 v[9:10], v[27:28], v[31:32], v[9:10]
	v_fma_f64 v[11:12], -v[27:28], v[33:34], v[11:12]
	v_fma_f64 v[9:10], v[35:36], v[33:34], v[9:10]
	s_andn2_b32 exec_lo, exec_lo, s30
	s_cbranch_execz .LBB105_10
.LBB105_15:                             ;   Parent Loop BB105_8 Depth=1
                                        ;     Parent Loop BB105_12 Depth=2
                                        ; =>    This Inner Loop Header: Depth=3
	s_and_b32 vcc_lo, exec_lo, s3
	s_cbranch_vccz .LBB105_17
; %bb.16:                               ;   in Loop: Header=BB105_15 Depth=3
	v_add_co_u32 v27, vcc_lo, v25, s31
	v_add_co_ci_u32_e64 v28, null, s29, v26, vcc_lo
	v_mul_lo_u32 v31, v27, s19
	v_mul_lo_u32 v32, v28, s18
	v_mad_u64_u32 v[27:28], null, v27, s18, v[13:14]
	v_add3_u32 v28, v32, v28, v31
	s_cbranch_execnz .LBB105_14
	s_branch .LBB105_18
.LBB105_17:                             ;   in Loop: Header=BB105_15 Depth=3
                                        ; implicit-def: $vgpr27_vgpr28
.LBB105_18:                             ;   in Loop: Header=BB105_15 Depth=3
	v_add_co_u32 v27, vcc_lo, v21, v25
	v_add_co_ci_u32_e64 v28, null, v22, v26, vcc_lo
	s_branch .LBB105_14
.LBB105_19:                             ;   in Loop: Header=BB105_8 Depth=1
	s_waitcnt lgkmcnt(3)
	ds_bpermute_b32 v21, v0, v11
	s_waitcnt lgkmcnt(3)
	ds_bpermute_b32 v22, v0, v12
	s_waitcnt lgkmcnt(3)
	ds_bpermute_b32 v23, v0, v9
	s_waitcnt lgkmcnt(3)
	ds_bpermute_b32 v24, v0, v10
	s_waitcnt lgkmcnt(2)
	v_add_f64 v[11:12], v[11:12], v[21:22]
	s_waitcnt lgkmcnt(0)
	v_add_f64 v[21:22], v[9:10], v[23:24]
	ds_bpermute_b32 v9, v29, v11
	ds_bpermute_b32 v10, v29, v12
	;; [unrolled: 1-line block ×4, first 2 shown]
	s_waitcnt lgkmcnt(2)
	v_add_f64 v[9:10], v[11:12], v[9:10]
	s_waitcnt lgkmcnt(0)
	v_add_f64 v[11:12], v[21:22], v[23:24]
	ds_bpermute_b32 v21, v30, v9
	ds_bpermute_b32 v22, v30, v10
	;; [unrolled: 1-line block ×4, first 2 shown]
	s_and_saveexec_b32 s2, s1
	s_cbranch_execz .LBB105_7
; %bb.20:                               ;   in Loop: Header=BB105_8 Depth=1
	s_waitcnt lgkmcnt(0)
	v_add_f64 v[11:12], v[11:12], v[23:24]
	v_add_f64 v[21:22], v[9:10], v[21:22]
	v_mul_f64 v[9:10], v[11:12], -v[3:4]
	v_mul_f64 v[11:12], v[1:2], v[11:12]
	v_fma_f64 v[9:10], v[1:2], v[21:22], v[9:10]
	v_fma_f64 v[11:12], v[3:4], v[21:22], v[11:12]
	v_lshlrev_b64 v[21:22], 4, v[13:14]
	s_and_saveexec_b32 s20, s23
	s_xor_b32 s20, exec_lo, s20
	s_cbranch_execz .LBB105_22
; %bb.21:                               ;   in Loop: Header=BB105_8 Depth=1
	v_add_co_u32 v21, vcc_lo, s24, v21
	v_add_co_ci_u32_e64 v22, null, s25, v22, vcc_lo
	global_store_dwordx4 v[21:22], v[9:12], off
                                        ; implicit-def: $vgpr21_vgpr22
                                        ; implicit-def: $vgpr9_vgpr10
.LBB105_22:                             ;   in Loop: Header=BB105_8 Depth=1
	s_andn2_saveexec_b32 s20, s20
	s_cbranch_execz .LBB105_7
; %bb.23:                               ;   in Loop: Header=BB105_8 Depth=1
	v_add_co_u32 v25, vcc_lo, s24, v21
	v_add_co_ci_u32_e64 v26, null, s25, v22, vcc_lo
	global_load_dwordx4 v[21:24], v[25:26], off
	s_waitcnt vmcnt(0)
	v_fma_f64 v[9:10], v[5:6], v[21:22], v[9:10]
	v_fma_f64 v[11:12], v[7:8], v[21:22], v[11:12]
	v_fma_f64 v[9:10], -v[7:8], v[23:24], v[9:10]
	v_fma_f64 v[11:12], v[5:6], v[23:24], v[11:12]
	global_store_dwordx4 v[25:26], v[9:12], off
	s_branch .LBB105_7
.LBB105_24:
	s_endpgm
	.section	.rodata,"a",@progbits
	.p2align	6, 0x0
	.amdhsa_kernel _ZN9rocsparseL22bsrxmvn_general_kernelILj64ELj8E21rocsparse_complex_numIdEllS1_IfES2_S2_EEv20rocsparse_direction_NS_24const_host_device_scalarIT1_EET3_PKS8_PKT2_SD_SA_PKT4_S8_PKT5_S7_PT6_21rocsparse_index_base_b
		.amdhsa_group_segment_fixed_size 0
		.amdhsa_private_segment_fixed_size 0
		.amdhsa_kernarg_size 120
		.amdhsa_user_sgpr_count 6
		.amdhsa_user_sgpr_private_segment_buffer 1
		.amdhsa_user_sgpr_dispatch_ptr 0
		.amdhsa_user_sgpr_queue_ptr 0
		.amdhsa_user_sgpr_kernarg_segment_ptr 1
		.amdhsa_user_sgpr_dispatch_id 0
		.amdhsa_user_sgpr_flat_scratch_init 0
		.amdhsa_user_sgpr_private_segment_size 0
		.amdhsa_wavefront_size32 1
		.amdhsa_uses_dynamic_stack 0
		.amdhsa_system_sgpr_private_segment_wavefront_offset 0
		.amdhsa_system_sgpr_workgroup_id_x 1
		.amdhsa_system_sgpr_workgroup_id_y 0
		.amdhsa_system_sgpr_workgroup_id_z 0
		.amdhsa_system_sgpr_workgroup_info 0
		.amdhsa_system_vgpr_workitem_id 0
		.amdhsa_next_free_vgpr 37
		.amdhsa_next_free_sgpr 36
		.amdhsa_reserve_vcc 1
		.amdhsa_reserve_flat_scratch 0
		.amdhsa_float_round_mode_32 0
		.amdhsa_float_round_mode_16_64 0
		.amdhsa_float_denorm_mode_32 3
		.amdhsa_float_denorm_mode_16_64 3
		.amdhsa_dx10_clamp 1
		.amdhsa_ieee_mode 1
		.amdhsa_fp16_overflow 0
		.amdhsa_workgroup_processor_mode 1
		.amdhsa_memory_ordered 1
		.amdhsa_forward_progress 1
		.amdhsa_shared_vgpr_count 0
		.amdhsa_exception_fp_ieee_invalid_op 0
		.amdhsa_exception_fp_denorm_src 0
		.amdhsa_exception_fp_ieee_div_zero 0
		.amdhsa_exception_fp_ieee_overflow 0
		.amdhsa_exception_fp_ieee_underflow 0
		.amdhsa_exception_fp_ieee_inexact 0
		.amdhsa_exception_int_div_zero 0
	.end_amdhsa_kernel
	.section	.text._ZN9rocsparseL22bsrxmvn_general_kernelILj64ELj8E21rocsparse_complex_numIdEllS1_IfES2_S2_EEv20rocsparse_direction_NS_24const_host_device_scalarIT1_EET3_PKS8_PKT2_SD_SA_PKT4_S8_PKT5_S7_PT6_21rocsparse_index_base_b,"axG",@progbits,_ZN9rocsparseL22bsrxmvn_general_kernelILj64ELj8E21rocsparse_complex_numIdEllS1_IfES2_S2_EEv20rocsparse_direction_NS_24const_host_device_scalarIT1_EET3_PKS8_PKT2_SD_SA_PKT4_S8_PKT5_S7_PT6_21rocsparse_index_base_b,comdat
.Lfunc_end105:
	.size	_ZN9rocsparseL22bsrxmvn_general_kernelILj64ELj8E21rocsparse_complex_numIdEllS1_IfES2_S2_EEv20rocsparse_direction_NS_24const_host_device_scalarIT1_EET3_PKS8_PKT2_SD_SA_PKT4_S8_PKT5_S7_PT6_21rocsparse_index_base_b, .Lfunc_end105-_ZN9rocsparseL22bsrxmvn_general_kernelILj64ELj8E21rocsparse_complex_numIdEllS1_IfES2_S2_EEv20rocsparse_direction_NS_24const_host_device_scalarIT1_EET3_PKS8_PKT2_SD_SA_PKT4_S8_PKT5_S7_PT6_21rocsparse_index_base_b
                                        ; -- End function
	.set _ZN9rocsparseL22bsrxmvn_general_kernelILj64ELj8E21rocsparse_complex_numIdEllS1_IfES2_S2_EEv20rocsparse_direction_NS_24const_host_device_scalarIT1_EET3_PKS8_PKT2_SD_SA_PKT4_S8_PKT5_S7_PT6_21rocsparse_index_base_b.num_vgpr, 37
	.set _ZN9rocsparseL22bsrxmvn_general_kernelILj64ELj8E21rocsparse_complex_numIdEllS1_IfES2_S2_EEv20rocsparse_direction_NS_24const_host_device_scalarIT1_EET3_PKS8_PKT2_SD_SA_PKT4_S8_PKT5_S7_PT6_21rocsparse_index_base_b.num_agpr, 0
	.set _ZN9rocsparseL22bsrxmvn_general_kernelILj64ELj8E21rocsparse_complex_numIdEllS1_IfES2_S2_EEv20rocsparse_direction_NS_24const_host_device_scalarIT1_EET3_PKS8_PKT2_SD_SA_PKT4_S8_PKT5_S7_PT6_21rocsparse_index_base_b.numbered_sgpr, 36
	.set _ZN9rocsparseL22bsrxmvn_general_kernelILj64ELj8E21rocsparse_complex_numIdEllS1_IfES2_S2_EEv20rocsparse_direction_NS_24const_host_device_scalarIT1_EET3_PKS8_PKT2_SD_SA_PKT4_S8_PKT5_S7_PT6_21rocsparse_index_base_b.num_named_barrier, 0
	.set _ZN9rocsparseL22bsrxmvn_general_kernelILj64ELj8E21rocsparse_complex_numIdEllS1_IfES2_S2_EEv20rocsparse_direction_NS_24const_host_device_scalarIT1_EET3_PKS8_PKT2_SD_SA_PKT4_S8_PKT5_S7_PT6_21rocsparse_index_base_b.private_seg_size, 0
	.set _ZN9rocsparseL22bsrxmvn_general_kernelILj64ELj8E21rocsparse_complex_numIdEllS1_IfES2_S2_EEv20rocsparse_direction_NS_24const_host_device_scalarIT1_EET3_PKS8_PKT2_SD_SA_PKT4_S8_PKT5_S7_PT6_21rocsparse_index_base_b.uses_vcc, 1
	.set _ZN9rocsparseL22bsrxmvn_general_kernelILj64ELj8E21rocsparse_complex_numIdEllS1_IfES2_S2_EEv20rocsparse_direction_NS_24const_host_device_scalarIT1_EET3_PKS8_PKT2_SD_SA_PKT4_S8_PKT5_S7_PT6_21rocsparse_index_base_b.uses_flat_scratch, 0
	.set _ZN9rocsparseL22bsrxmvn_general_kernelILj64ELj8E21rocsparse_complex_numIdEllS1_IfES2_S2_EEv20rocsparse_direction_NS_24const_host_device_scalarIT1_EET3_PKS8_PKT2_SD_SA_PKT4_S8_PKT5_S7_PT6_21rocsparse_index_base_b.has_dyn_sized_stack, 0
	.set _ZN9rocsparseL22bsrxmvn_general_kernelILj64ELj8E21rocsparse_complex_numIdEllS1_IfES2_S2_EEv20rocsparse_direction_NS_24const_host_device_scalarIT1_EET3_PKS8_PKT2_SD_SA_PKT4_S8_PKT5_S7_PT6_21rocsparse_index_base_b.has_recursion, 0
	.set _ZN9rocsparseL22bsrxmvn_general_kernelILj64ELj8E21rocsparse_complex_numIdEllS1_IfES2_S2_EEv20rocsparse_direction_NS_24const_host_device_scalarIT1_EET3_PKS8_PKT2_SD_SA_PKT4_S8_PKT5_S7_PT6_21rocsparse_index_base_b.has_indirect_call, 0
	.section	.AMDGPU.csdata,"",@progbits
; Kernel info:
; codeLenInByte = 1520
; TotalNumSgprs: 38
; NumVgprs: 37
; ScratchSize: 0
; MemoryBound: 0
; FloatMode: 240
; IeeeMode: 1
; LDSByteSize: 0 bytes/workgroup (compile time only)
; SGPRBlocks: 0
; VGPRBlocks: 4
; NumSGPRsForWavesPerEU: 38
; NumVGPRsForWavesPerEU: 37
; Occupancy: 16
; WaveLimiterHint : 0
; COMPUTE_PGM_RSRC2:SCRATCH_EN: 0
; COMPUTE_PGM_RSRC2:USER_SGPR: 6
; COMPUTE_PGM_RSRC2:TRAP_HANDLER: 0
; COMPUTE_PGM_RSRC2:TGID_X_EN: 1
; COMPUTE_PGM_RSRC2:TGID_Y_EN: 0
; COMPUTE_PGM_RSRC2:TGID_Z_EN: 0
; COMPUTE_PGM_RSRC2:TIDIG_COMP_CNT: 0
	.section	.text._ZN9rocsparseL22bsrxmvn_general_kernelILj256ELj16E21rocsparse_complex_numIdEllS1_IfES2_S2_EEv20rocsparse_direction_NS_24const_host_device_scalarIT1_EET3_PKS8_PKT2_SD_SA_PKT4_S8_PKT5_S7_PT6_21rocsparse_index_base_b,"axG",@progbits,_ZN9rocsparseL22bsrxmvn_general_kernelILj256ELj16E21rocsparse_complex_numIdEllS1_IfES2_S2_EEv20rocsparse_direction_NS_24const_host_device_scalarIT1_EET3_PKS8_PKT2_SD_SA_PKT4_S8_PKT5_S7_PT6_21rocsparse_index_base_b,comdat
	.globl	_ZN9rocsparseL22bsrxmvn_general_kernelILj256ELj16E21rocsparse_complex_numIdEllS1_IfES2_S2_EEv20rocsparse_direction_NS_24const_host_device_scalarIT1_EET3_PKS8_PKT2_SD_SA_PKT4_S8_PKT5_S7_PT6_21rocsparse_index_base_b ; -- Begin function _ZN9rocsparseL22bsrxmvn_general_kernelILj256ELj16E21rocsparse_complex_numIdEllS1_IfES2_S2_EEv20rocsparse_direction_NS_24const_host_device_scalarIT1_EET3_PKS8_PKT2_SD_SA_PKT4_S8_PKT5_S7_PT6_21rocsparse_index_base_b
	.p2align	8
	.type	_ZN9rocsparseL22bsrxmvn_general_kernelILj256ELj16E21rocsparse_complex_numIdEllS1_IfES2_S2_EEv20rocsparse_direction_NS_24const_host_device_scalarIT1_EET3_PKS8_PKT2_SD_SA_PKT4_S8_PKT5_S7_PT6_21rocsparse_index_base_b,@function
_ZN9rocsparseL22bsrxmvn_general_kernelILj256ELj16E21rocsparse_complex_numIdEllS1_IfES2_S2_EEv20rocsparse_direction_NS_24const_host_device_scalarIT1_EET3_PKS8_PKT2_SD_SA_PKT4_S8_PKT5_S7_PT6_21rocsparse_index_base_b: ; @_ZN9rocsparseL22bsrxmvn_general_kernelILj256ELj16E21rocsparse_complex_numIdEllS1_IfES2_S2_EEv20rocsparse_direction_NS_24const_host_device_scalarIT1_EET3_PKS8_PKT2_SD_SA_PKT4_S8_PKT5_S7_PT6_21rocsparse_index_base_b
; %bb.0:
	s_clause 0x1
	s_load_dwordx2 s[16:17], s[4:5], 0x70
	s_load_dwordx2 s[0:1], s[4:5], 0x8
	s_add_u32 s7, s4, 8
	s_addc_u32 s8, s5, 0
	s_add_u32 s9, s4, 0x58
	s_addc_u32 s10, s5, 0
	s_load_dwordx2 s[2:3], s[4:5], 0x58
	s_waitcnt lgkmcnt(0)
	s_bitcmp1_b32 s17, 0
	s_cselect_b32 s0, s7, s0
	s_cselect_b32 s1, s8, s1
	v_mov_b32_e32 v1, s0
	v_mov_b32_e32 v2, s1
	s_cselect_b32 s0, s9, s2
	s_cselect_b32 s1, s10, s3
	v_mov_b32_e32 v5, s0
	v_mov_b32_e32 v6, s1
	flat_load_dwordx4 v[1:4], v[1:2]
	flat_load_dwordx4 v[5:8], v[5:6]
	s_waitcnt vmcnt(1) lgkmcnt(1)
	v_cmp_eq_f64_e32 vcc_lo, 0, v[1:2]
	v_cmp_eq_f64_e64 s0, 0, v[3:4]
	s_and_b32 s2, vcc_lo, s0
	s_mov_b32 s0, -1
	s_and_saveexec_b32 s1, s2
	s_cbranch_execz .LBB106_2
; %bb.1:
	s_waitcnt vmcnt(0) lgkmcnt(0)
	v_cmp_neq_f64_e32 vcc_lo, 1.0, v[5:6]
	v_cmp_neq_f64_e64 s0, 0, v[7:8]
	s_or_b32 s0, vcc_lo, s0
	s_orn2_b32 s0, s0, exec_lo
.LBB106_2:
	s_or_b32 exec_lo, exec_lo, s1
	s_and_saveexec_b32 s1, s0
	s_cbranch_execz .LBB106_24
; %bb.3:
	s_load_dwordx2 s[0:1], s[4:5], 0x20
	s_mov_b32 s7, 0
	s_waitcnt lgkmcnt(0)
	s_cmp_eq_u64 s[0:1], 0
	s_cbranch_scc1 .LBB106_5
; %bb.4:
	s_lshl_b64 s[2:3], s[6:7], 3
	s_add_u32 s0, s0, s2
	s_addc_u32 s1, s1, s3
	s_load_dwordx2 s[0:1], s[0:1], 0x0
	s_waitcnt lgkmcnt(0)
	s_sub_u32 s6, s0, s16
	s_subb_u32 s7, s1, 0
.LBB106_5:
	s_load_dwordx2 s[18:19], s[4:5], 0x48
	v_lshrrev_b32_e32 v13, 4, v0
	v_mov_b32_e32 v14, 0
	s_waitcnt lgkmcnt(0)
	v_cmp_gt_i64_e32 vcc_lo, s[18:19], v[13:14]
	s_and_b32 exec_lo, exec_lo, vcc_lo
	s_cbranch_execz .LBB106_24
; %bb.6:
	s_clause 0x2
	s_load_dwordx8 s[8:15], s[4:5], 0x28
	s_load_dwordx2 s[20:21], s[4:5], 0x68
	s_load_dwordx2 s[22:23], s[4:5], 0x50
	s_lshl_b64 s[24:25], s[6:7], 3
	v_and_b32_e32 v15, 15, v0
	v_mbcnt_lo_u32_b32 v0, -1, 0
	s_mul_i32 s30, s6, s19
	s_mul_hi_u32 s31, s6, s18
	s_mul_i32 s28, s6, s18
	s_mul_i32 s33, s7, s18
	v_xor_b32_e32 v9, 8, v0
	v_xor_b32_e32 v10, 4, v0
	v_xor_b32_e32 v11, 2, v0
	v_xor_b32_e32 v12, 1, v0
	s_waitcnt vmcnt(0)
	v_cmp_eq_f64_e32 vcc_lo, 0, v[5:6]
	v_cmp_gt_i32_e64 s3, 32, v9
	v_cmp_eq_f64_e64 s2, 0, v[7:8]
	v_lshlrev_b32_e32 v17, 4, v15
	v_mov_b32_e32 v16, v14
	s_mul_i32 s34, s18, s19
	s_waitcnt lgkmcnt(0)
	s_add_u32 s26, s8, s24
	s_addc_u32 s27, s9, s25
	s_load_dword s29, s[4:5], 0x0
	s_load_dwordx2 s[8:9], s[26:27], 0x0
	v_cndmask_b32_e64 v18, v0, v9, s3
	v_cmp_gt_i32_e64 s3, 32, v10
	s_mul_hi_u32 s35, s18, s18
	v_cmp_gt_u64_e64 s0, s[18:19], v[15:16]
	v_cmp_eq_u32_e64 s1, 15, v15
	s_mov_b32 s17, 0
	v_cndmask_b32_e64 v19, v0, v10, s3
	v_cmp_gt_i32_e64 s3, 32, v11
	v_lshlrev_b32_e32 v29, 2, v19
	v_cndmask_b32_e64 v11, v0, v11, s3
	v_cmp_gt_i32_e64 s3, 32, v12
	v_lshlrev_b32_e32 v30, 2, v11
	v_cndmask_b32_e64 v12, v0, v12, s3
	s_waitcnt lgkmcnt(0)
	s_sub_u32 s4, s8, s16
	s_subb_u32 s5, s9, 0
	s_add_u32 s6, s26, 8
	s_addc_u32 s7, s27, 0
	s_add_u32 s24, s10, s24
	s_addc_u32 s25, s11, s25
	s_cmp_eq_u64 s[10:11], 0
	v_mad_u64_u32 v[9:10], null, s18, s4, v[13:14]
	s_cselect_b32 s7, s7, s25
	s_cselect_b32 s6, s6, s24
	s_mul_i32 s3, s19, s4
	s_load_dwordx2 s[10:11], s[6:7], 0x0
	s_mul_i32 s6, s18, s5
	v_lshlrev_b32_e32 v31, 2, v12
	v_add3_u32 v10, s6, s3, v10
	v_add_co_u32 v11, s3, s22, v17
	v_add_co_ci_u32_e64 v12, null, s23, 0, s3
	v_lshlrev_b32_e32 v0, 2, v18
	v_mul_lo_u32 v21, s19, v9
	v_mad_u64_u32 v[17:18], null, s18, v9, 0
	v_mul_lo_u32 v9, s18, v10
	v_add_co_u32 v19, s3, v11, 8
	v_add_co_ci_u32_e64 v20, null, 0, v12, s3
	s_mul_i32 s25, s18, s18
	s_waitcnt lgkmcnt(0)
	s_sub_u32 s6, s10, s16
	s_subb_u32 s7, s11, 0
	s_cmp_lg_u32 s29, 0
	v_add3_u32 v18, v18, v9, v21
	s_cselect_b32 s3, -1, 0
	s_add_i32 s22, s31, s30
	s_and_b32 s23, vcc_lo, s2
	s_add_i32 s29, s22, s33
	v_cmp_lt_i64_e64 s22, s[8:9], s[10:11]
	s_lshl_b64 s[8:9], s[28:29], 4
	s_add_u32 s20, s20, s8
	s_addc_u32 s21, s21, s9
	s_add_i32 s2, s35, s34
	s_lshl_b64 s[8:9], s[18:19], 4
	s_add_i32 s24, s2, s34
	s_branch .LBB106_8
.LBB106_7:                              ;   in Loop: Header=BB106_8 Depth=1
	s_or_b32 exec_lo, exec_lo, s2
	v_add_co_u32 v13, vcc_lo, v13, 16
	v_add_co_ci_u32_e64 v14, null, 0, v14, vcc_lo
	v_add_co_u32 v17, s2, v17, s8
	v_add_co_ci_u32_e64 v18, null, s9, v18, s2
	v_cmp_le_i64_e32 vcc_lo, s[18:19], v[13:14]
	s_or_b32 s17, vcc_lo, s17
	s_andn2_b32 exec_lo, exec_lo, s17
	s_cbranch_execz .LBB106_24
.LBB106_8:                              ; =>This Loop Header: Depth=1
                                        ;     Child Loop BB106_12 Depth 2
                                        ;       Child Loop BB106_15 Depth 3
	v_mov_b32_e32 v9, 0
	v_mov_b32_e32 v11, 0
	;; [unrolled: 1-line block ×4, first 2 shown]
	s_andn2_b32 vcc_lo, exec_lo, s22
	s_cbranch_vccnz .LBB106_19
; %bb.9:                                ;   in Loop: Header=BB106_8 Depth=1
	v_mov_b32_e32 v9, 0
	v_mov_b32_e32 v11, 0
	s_waitcnt lgkmcnt(2)
	v_mov_b32_e32 v22, v18
	v_mov_b32_e32 v10, 0
	;; [unrolled: 1-line block ×4, first 2 shown]
	s_mov_b64 s[10:11], s[4:5]
	s_branch .LBB106_12
.LBB106_10:                             ;   in Loop: Header=BB106_12 Depth=2
	s_or_b32 exec_lo, exec_lo, s28
.LBB106_11:                             ;   in Loop: Header=BB106_12 Depth=2
	s_or_b32 exec_lo, exec_lo, s26
	s_add_u32 s10, s10, 1
	s_addc_u32 s11, s11, 0
	v_add_co_u32 v21, vcc_lo, v21, s25
	v_cmp_ge_i64_e64 s2, s[10:11], s[6:7]
	v_add_co_ci_u32_e64 v22, null, s24, v22, vcc_lo
	s_and_b32 vcc_lo, exec_lo, s2
	s_cbranch_vccnz .LBB106_19
.LBB106_12:                             ;   Parent Loop BB106_8 Depth=1
                                        ; =>  This Loop Header: Depth=2
                                        ;       Child Loop BB106_15 Depth 3
	s_and_saveexec_b32 s26, s0
	s_cbranch_execz .LBB106_11
; %bb.13:                               ;   in Loop: Header=BB106_12 Depth=2
	s_lshl_b64 s[28:29], s[10:11], 3
	s_mul_i32 s27, s10, s19
	s_add_u32 s28, s12, s28
	s_addc_u32 s29, s13, s29
	v_mov_b32_e32 v26, v16
	s_load_dwordx2 s[28:29], s[28:29], 0x0
	v_mov_b32_e32 v25, v15
	s_mul_i32 s30, s11, s18
	s_waitcnt lgkmcnt(0)
	s_sub_u32 s2, s28, s16
	s_subb_u32 s29, s29, 0
	v_mad_u64_u32 v[23:24], null, s8, s2, v[19:20]
	s_mul_i32 s2, s9, s2
	s_mul_i32 s29, s8, s29
	s_mul_hi_u32 s28, s10, s18
	s_add_i32 s27, s28, s27
	s_mov_b32 s28, 0
	v_add3_u32 v24, s29, s2, v24
	s_add_i32 s27, s27, s30
	s_mul_i32 s29, s10, s18
	s_branch .LBB106_15
.LBB106_14:                             ;   in Loop: Header=BB106_15 Depth=3
	v_lshlrev_b64 v[27:28], 3, v[27:28]
	v_add_co_u32 v27, vcc_lo, s14, v27
	v_add_co_ci_u32_e64 v28, null, s15, v28, vcc_lo
	v_add_co_u32 v25, vcc_lo, v25, 16
	v_add_co_ci_u32_e64 v26, null, 0, v26, vcc_lo
	global_load_dwordx2 v[27:28], v[27:28], off
	global_load_dwordx4 v[32:35], v[23:24], off offset:-8
	v_add_co_u32 v23, s2, 0x100, v23
	v_cmp_le_i64_e32 vcc_lo, s[18:19], v[25:26]
	v_add_co_ci_u32_e64 v24, null, 0, v24, s2
	s_or_b32 s28, vcc_lo, s28
	s_waitcnt vmcnt(1)
	v_cvt_f64_f32_e32 v[36:37], v27
	v_cvt_f64_f32_e32 v[27:28], v28
	s_waitcnt vmcnt(0)
	v_fma_f64 v[11:12], v[36:37], v[32:33], v[11:12]
	v_fma_f64 v[9:10], v[27:28], v[32:33], v[9:10]
	v_fma_f64 v[11:12], -v[27:28], v[34:35], v[11:12]
	v_fma_f64 v[9:10], v[36:37], v[34:35], v[9:10]
	s_andn2_b32 exec_lo, exec_lo, s28
	s_cbranch_execz .LBB106_10
.LBB106_15:                             ;   Parent Loop BB106_8 Depth=1
                                        ;     Parent Loop BB106_12 Depth=2
                                        ; =>    This Inner Loop Header: Depth=3
	s_and_b32 vcc_lo, exec_lo, s3
	s_cbranch_vccz .LBB106_17
; %bb.16:                               ;   in Loop: Header=BB106_15 Depth=3
	v_add_co_u32 v27, vcc_lo, v25, s29
	v_add_co_ci_u32_e64 v28, null, s27, v26, vcc_lo
	v_mul_lo_u32 v32, v27, s19
	v_mul_lo_u32 v33, v28, s18
	v_mad_u64_u32 v[27:28], null, v27, s18, v[13:14]
	v_add3_u32 v28, v33, v28, v32
	s_cbranch_execnz .LBB106_14
	s_branch .LBB106_18
.LBB106_17:                             ;   in Loop: Header=BB106_15 Depth=3
                                        ; implicit-def: $vgpr27_vgpr28
.LBB106_18:                             ;   in Loop: Header=BB106_15 Depth=3
	v_add_co_u32 v27, vcc_lo, v21, v25
	v_add_co_ci_u32_e64 v28, null, v22, v26, vcc_lo
	s_branch .LBB106_14
.LBB106_19:                             ;   in Loop: Header=BB106_8 Depth=1
	s_waitcnt lgkmcnt(3)
	ds_bpermute_b32 v21, v0, v11
	s_waitcnt lgkmcnt(3)
	ds_bpermute_b32 v22, v0, v12
	;; [unrolled: 2-line block ×4, first 2 shown]
	s_waitcnt lgkmcnt(2)
	v_add_f64 v[11:12], v[11:12], v[21:22]
	s_waitcnt lgkmcnt(0)
	v_add_f64 v[9:10], v[9:10], v[23:24]
	ds_bpermute_b32 v21, v29, v11
	ds_bpermute_b32 v22, v29, v12
	ds_bpermute_b32 v23, v29, v9
	ds_bpermute_b32 v24, v29, v10
	s_waitcnt lgkmcnt(2)
	v_add_f64 v[11:12], v[11:12], v[21:22]
	s_waitcnt lgkmcnt(0)
	v_add_f64 v[21:22], v[9:10], v[23:24]
	ds_bpermute_b32 v9, v30, v11
	ds_bpermute_b32 v10, v30, v12
	ds_bpermute_b32 v23, v30, v21
	ds_bpermute_b32 v24, v30, v22
	;; [unrolled: 8-line block ×3, first 2 shown]
	s_and_saveexec_b32 s2, s1
	s_cbranch_execz .LBB106_7
; %bb.20:                               ;   in Loop: Header=BB106_8 Depth=1
	s_waitcnt lgkmcnt(0)
	v_add_f64 v[11:12], v[11:12], v[23:24]
	v_add_f64 v[21:22], v[9:10], v[21:22]
	v_mul_f64 v[9:10], v[11:12], -v[3:4]
	v_mul_f64 v[11:12], v[1:2], v[11:12]
	v_fma_f64 v[9:10], v[1:2], v[21:22], v[9:10]
	v_fma_f64 v[11:12], v[3:4], v[21:22], v[11:12]
	v_lshlrev_b64 v[21:22], 4, v[13:14]
	s_and_saveexec_b32 s10, s23
	s_xor_b32 s10, exec_lo, s10
	s_cbranch_execz .LBB106_22
; %bb.21:                               ;   in Loop: Header=BB106_8 Depth=1
	v_add_co_u32 v21, vcc_lo, s20, v21
	v_add_co_ci_u32_e64 v22, null, s21, v22, vcc_lo
	global_store_dwordx4 v[21:22], v[9:12], off
                                        ; implicit-def: $vgpr21_vgpr22
                                        ; implicit-def: $vgpr9_vgpr10
.LBB106_22:                             ;   in Loop: Header=BB106_8 Depth=1
	s_andn2_saveexec_b32 s10, s10
	s_cbranch_execz .LBB106_7
; %bb.23:                               ;   in Loop: Header=BB106_8 Depth=1
	v_add_co_u32 v25, vcc_lo, s20, v21
	v_add_co_ci_u32_e64 v26, null, s21, v22, vcc_lo
	global_load_dwordx4 v[21:24], v[25:26], off
	s_waitcnt vmcnt(0)
	v_fma_f64 v[9:10], v[5:6], v[21:22], v[9:10]
	v_fma_f64 v[11:12], v[7:8], v[21:22], v[11:12]
	v_fma_f64 v[9:10], -v[7:8], v[23:24], v[9:10]
	v_fma_f64 v[11:12], v[5:6], v[23:24], v[11:12]
	global_store_dwordx4 v[25:26], v[9:12], off
	s_branch .LBB106_7
.LBB106_24:
	s_endpgm
	.section	.rodata,"a",@progbits
	.p2align	6, 0x0
	.amdhsa_kernel _ZN9rocsparseL22bsrxmvn_general_kernelILj256ELj16E21rocsparse_complex_numIdEllS1_IfES2_S2_EEv20rocsparse_direction_NS_24const_host_device_scalarIT1_EET3_PKS8_PKT2_SD_SA_PKT4_S8_PKT5_S7_PT6_21rocsparse_index_base_b
		.amdhsa_group_segment_fixed_size 0
		.amdhsa_private_segment_fixed_size 0
		.amdhsa_kernarg_size 120
		.amdhsa_user_sgpr_count 6
		.amdhsa_user_sgpr_private_segment_buffer 1
		.amdhsa_user_sgpr_dispatch_ptr 0
		.amdhsa_user_sgpr_queue_ptr 0
		.amdhsa_user_sgpr_kernarg_segment_ptr 1
		.amdhsa_user_sgpr_dispatch_id 0
		.amdhsa_user_sgpr_flat_scratch_init 0
		.amdhsa_user_sgpr_private_segment_size 0
		.amdhsa_wavefront_size32 1
		.amdhsa_uses_dynamic_stack 0
		.amdhsa_system_sgpr_private_segment_wavefront_offset 0
		.amdhsa_system_sgpr_workgroup_id_x 1
		.amdhsa_system_sgpr_workgroup_id_y 0
		.amdhsa_system_sgpr_workgroup_id_z 0
		.amdhsa_system_sgpr_workgroup_info 0
		.amdhsa_system_vgpr_workitem_id 0
		.amdhsa_next_free_vgpr 38
		.amdhsa_next_free_sgpr 36
		.amdhsa_reserve_vcc 1
		.amdhsa_reserve_flat_scratch 0
		.amdhsa_float_round_mode_32 0
		.amdhsa_float_round_mode_16_64 0
		.amdhsa_float_denorm_mode_32 3
		.amdhsa_float_denorm_mode_16_64 3
		.amdhsa_dx10_clamp 1
		.amdhsa_ieee_mode 1
		.amdhsa_fp16_overflow 0
		.amdhsa_workgroup_processor_mode 1
		.amdhsa_memory_ordered 1
		.amdhsa_forward_progress 1
		.amdhsa_shared_vgpr_count 0
		.amdhsa_exception_fp_ieee_invalid_op 0
		.amdhsa_exception_fp_denorm_src 0
		.amdhsa_exception_fp_ieee_div_zero 0
		.amdhsa_exception_fp_ieee_overflow 0
		.amdhsa_exception_fp_ieee_underflow 0
		.amdhsa_exception_fp_ieee_inexact 0
		.amdhsa_exception_int_div_zero 0
	.end_amdhsa_kernel
	.section	.text._ZN9rocsparseL22bsrxmvn_general_kernelILj256ELj16E21rocsparse_complex_numIdEllS1_IfES2_S2_EEv20rocsparse_direction_NS_24const_host_device_scalarIT1_EET3_PKS8_PKT2_SD_SA_PKT4_S8_PKT5_S7_PT6_21rocsparse_index_base_b,"axG",@progbits,_ZN9rocsparseL22bsrxmvn_general_kernelILj256ELj16E21rocsparse_complex_numIdEllS1_IfES2_S2_EEv20rocsparse_direction_NS_24const_host_device_scalarIT1_EET3_PKS8_PKT2_SD_SA_PKT4_S8_PKT5_S7_PT6_21rocsparse_index_base_b,comdat
.Lfunc_end106:
	.size	_ZN9rocsparseL22bsrxmvn_general_kernelILj256ELj16E21rocsparse_complex_numIdEllS1_IfES2_S2_EEv20rocsparse_direction_NS_24const_host_device_scalarIT1_EET3_PKS8_PKT2_SD_SA_PKT4_S8_PKT5_S7_PT6_21rocsparse_index_base_b, .Lfunc_end106-_ZN9rocsparseL22bsrxmvn_general_kernelILj256ELj16E21rocsparse_complex_numIdEllS1_IfES2_S2_EEv20rocsparse_direction_NS_24const_host_device_scalarIT1_EET3_PKS8_PKT2_SD_SA_PKT4_S8_PKT5_S7_PT6_21rocsparse_index_base_b
                                        ; -- End function
	.set _ZN9rocsparseL22bsrxmvn_general_kernelILj256ELj16E21rocsparse_complex_numIdEllS1_IfES2_S2_EEv20rocsparse_direction_NS_24const_host_device_scalarIT1_EET3_PKS8_PKT2_SD_SA_PKT4_S8_PKT5_S7_PT6_21rocsparse_index_base_b.num_vgpr, 38
	.set _ZN9rocsparseL22bsrxmvn_general_kernelILj256ELj16E21rocsparse_complex_numIdEllS1_IfES2_S2_EEv20rocsparse_direction_NS_24const_host_device_scalarIT1_EET3_PKS8_PKT2_SD_SA_PKT4_S8_PKT5_S7_PT6_21rocsparse_index_base_b.num_agpr, 0
	.set _ZN9rocsparseL22bsrxmvn_general_kernelILj256ELj16E21rocsparse_complex_numIdEllS1_IfES2_S2_EEv20rocsparse_direction_NS_24const_host_device_scalarIT1_EET3_PKS8_PKT2_SD_SA_PKT4_S8_PKT5_S7_PT6_21rocsparse_index_base_b.numbered_sgpr, 36
	.set _ZN9rocsparseL22bsrxmvn_general_kernelILj256ELj16E21rocsparse_complex_numIdEllS1_IfES2_S2_EEv20rocsparse_direction_NS_24const_host_device_scalarIT1_EET3_PKS8_PKT2_SD_SA_PKT4_S8_PKT5_S7_PT6_21rocsparse_index_base_b.num_named_barrier, 0
	.set _ZN9rocsparseL22bsrxmvn_general_kernelILj256ELj16E21rocsparse_complex_numIdEllS1_IfES2_S2_EEv20rocsparse_direction_NS_24const_host_device_scalarIT1_EET3_PKS8_PKT2_SD_SA_PKT4_S8_PKT5_S7_PT6_21rocsparse_index_base_b.private_seg_size, 0
	.set _ZN9rocsparseL22bsrxmvn_general_kernelILj256ELj16E21rocsparse_complex_numIdEllS1_IfES2_S2_EEv20rocsparse_direction_NS_24const_host_device_scalarIT1_EET3_PKS8_PKT2_SD_SA_PKT4_S8_PKT5_S7_PT6_21rocsparse_index_base_b.uses_vcc, 1
	.set _ZN9rocsparseL22bsrxmvn_general_kernelILj256ELj16E21rocsparse_complex_numIdEllS1_IfES2_S2_EEv20rocsparse_direction_NS_24const_host_device_scalarIT1_EET3_PKS8_PKT2_SD_SA_PKT4_S8_PKT5_S7_PT6_21rocsparse_index_base_b.uses_flat_scratch, 0
	.set _ZN9rocsparseL22bsrxmvn_general_kernelILj256ELj16E21rocsparse_complex_numIdEllS1_IfES2_S2_EEv20rocsparse_direction_NS_24const_host_device_scalarIT1_EET3_PKS8_PKT2_SD_SA_PKT4_S8_PKT5_S7_PT6_21rocsparse_index_base_b.has_dyn_sized_stack, 0
	.set _ZN9rocsparseL22bsrxmvn_general_kernelILj256ELj16E21rocsparse_complex_numIdEllS1_IfES2_S2_EEv20rocsparse_direction_NS_24const_host_device_scalarIT1_EET3_PKS8_PKT2_SD_SA_PKT4_S8_PKT5_S7_PT6_21rocsparse_index_base_b.has_recursion, 0
	.set _ZN9rocsparseL22bsrxmvn_general_kernelILj256ELj16E21rocsparse_complex_numIdEllS1_IfES2_S2_EEv20rocsparse_direction_NS_24const_host_device_scalarIT1_EET3_PKS8_PKT2_SD_SA_PKT4_S8_PKT5_S7_PT6_21rocsparse_index_base_b.has_indirect_call, 0
	.section	.AMDGPU.csdata,"",@progbits
; Kernel info:
; codeLenInByte = 1596
; TotalNumSgprs: 38
; NumVgprs: 38
; ScratchSize: 0
; MemoryBound: 0
; FloatMode: 240
; IeeeMode: 1
; LDSByteSize: 0 bytes/workgroup (compile time only)
; SGPRBlocks: 0
; VGPRBlocks: 4
; NumSGPRsForWavesPerEU: 38
; NumVGPRsForWavesPerEU: 38
; Occupancy: 16
; WaveLimiterHint : 0
; COMPUTE_PGM_RSRC2:SCRATCH_EN: 0
; COMPUTE_PGM_RSRC2:USER_SGPR: 6
; COMPUTE_PGM_RSRC2:TRAP_HANDLER: 0
; COMPUTE_PGM_RSRC2:TGID_X_EN: 1
; COMPUTE_PGM_RSRC2:TGID_Y_EN: 0
; COMPUTE_PGM_RSRC2:TGID_Z_EN: 0
; COMPUTE_PGM_RSRC2:TIDIG_COMP_CNT: 0
	.section	.text._ZN9rocsparseL22bsrxmvn_general_kernelILj1024ELj32E21rocsparse_complex_numIdEllS1_IfES2_S2_EEv20rocsparse_direction_NS_24const_host_device_scalarIT1_EET3_PKS8_PKT2_SD_SA_PKT4_S8_PKT5_S7_PT6_21rocsparse_index_base_b,"axG",@progbits,_ZN9rocsparseL22bsrxmvn_general_kernelILj1024ELj32E21rocsparse_complex_numIdEllS1_IfES2_S2_EEv20rocsparse_direction_NS_24const_host_device_scalarIT1_EET3_PKS8_PKT2_SD_SA_PKT4_S8_PKT5_S7_PT6_21rocsparse_index_base_b,comdat
	.globl	_ZN9rocsparseL22bsrxmvn_general_kernelILj1024ELj32E21rocsparse_complex_numIdEllS1_IfES2_S2_EEv20rocsparse_direction_NS_24const_host_device_scalarIT1_EET3_PKS8_PKT2_SD_SA_PKT4_S8_PKT5_S7_PT6_21rocsparse_index_base_b ; -- Begin function _ZN9rocsparseL22bsrxmvn_general_kernelILj1024ELj32E21rocsparse_complex_numIdEllS1_IfES2_S2_EEv20rocsparse_direction_NS_24const_host_device_scalarIT1_EET3_PKS8_PKT2_SD_SA_PKT4_S8_PKT5_S7_PT6_21rocsparse_index_base_b
	.p2align	8
	.type	_ZN9rocsparseL22bsrxmvn_general_kernelILj1024ELj32E21rocsparse_complex_numIdEllS1_IfES2_S2_EEv20rocsparse_direction_NS_24const_host_device_scalarIT1_EET3_PKS8_PKT2_SD_SA_PKT4_S8_PKT5_S7_PT6_21rocsparse_index_base_b,@function
_ZN9rocsparseL22bsrxmvn_general_kernelILj1024ELj32E21rocsparse_complex_numIdEllS1_IfES2_S2_EEv20rocsparse_direction_NS_24const_host_device_scalarIT1_EET3_PKS8_PKT2_SD_SA_PKT4_S8_PKT5_S7_PT6_21rocsparse_index_base_b: ; @_ZN9rocsparseL22bsrxmvn_general_kernelILj1024ELj32E21rocsparse_complex_numIdEllS1_IfES2_S2_EEv20rocsparse_direction_NS_24const_host_device_scalarIT1_EET3_PKS8_PKT2_SD_SA_PKT4_S8_PKT5_S7_PT6_21rocsparse_index_base_b
; %bb.0:
	s_clause 0x1
	s_load_dwordx2 s[16:17], s[4:5], 0x70
	s_load_dwordx2 s[0:1], s[4:5], 0x8
	s_add_u32 s7, s4, 8
	s_addc_u32 s8, s5, 0
	s_add_u32 s9, s4, 0x58
	s_addc_u32 s10, s5, 0
	s_load_dwordx2 s[2:3], s[4:5], 0x58
	s_waitcnt lgkmcnt(0)
	s_bitcmp1_b32 s17, 0
	s_cselect_b32 s0, s7, s0
	s_cselect_b32 s1, s8, s1
	v_mov_b32_e32 v1, s0
	v_mov_b32_e32 v2, s1
	s_cselect_b32 s0, s9, s2
	s_cselect_b32 s1, s10, s3
	v_mov_b32_e32 v5, s0
	v_mov_b32_e32 v6, s1
	flat_load_dwordx4 v[1:4], v[1:2]
	flat_load_dwordx4 v[5:8], v[5:6]
	s_waitcnt vmcnt(1) lgkmcnt(1)
	v_cmp_eq_f64_e32 vcc_lo, 0, v[1:2]
	v_cmp_eq_f64_e64 s0, 0, v[3:4]
	s_and_b32 s2, vcc_lo, s0
	s_mov_b32 s0, -1
	s_and_saveexec_b32 s1, s2
	s_cbranch_execz .LBB107_2
; %bb.1:
	s_waitcnt vmcnt(0) lgkmcnt(0)
	v_cmp_neq_f64_e32 vcc_lo, 1.0, v[5:6]
	v_cmp_neq_f64_e64 s0, 0, v[7:8]
	s_or_b32 s0, vcc_lo, s0
	s_orn2_b32 s0, s0, exec_lo
.LBB107_2:
	s_or_b32 exec_lo, exec_lo, s1
	s_and_saveexec_b32 s1, s0
	s_cbranch_execz .LBB107_24
; %bb.3:
	s_load_dwordx2 s[0:1], s[4:5], 0x20
	s_mov_b32 s7, 0
	s_waitcnt lgkmcnt(0)
	s_cmp_eq_u64 s[0:1], 0
	s_cbranch_scc1 .LBB107_5
; %bb.4:
	s_lshl_b64 s[2:3], s[6:7], 3
	s_add_u32 s0, s0, s2
	s_addc_u32 s1, s1, s3
	s_load_dwordx2 s[0:1], s[0:1], 0x0
	s_waitcnt lgkmcnt(0)
	s_sub_u32 s6, s0, s16
	s_subb_u32 s7, s1, 0
.LBB107_5:
	s_load_dwordx2 s[18:19], s[4:5], 0x48
	v_lshrrev_b32_e32 v13, 5, v0
	v_mov_b32_e32 v14, 0
	s_waitcnt lgkmcnt(0)
	v_cmp_gt_i64_e32 vcc_lo, s[18:19], v[13:14]
	s_and_b32 exec_lo, exec_lo, vcc_lo
	s_cbranch_execz .LBB107_24
; %bb.6:
	s_clause 0x2
	s_load_dwordx8 s[8:15], s[4:5], 0x28
	s_load_dwordx2 s[20:21], s[4:5], 0x68
	s_load_dwordx2 s[22:23], s[4:5], 0x50
	s_lshl_b64 s[24:25], s[6:7], 3
	v_and_b32_e32 v15, 31, v0
	v_mbcnt_lo_u32_b32 v0, -1, 0
	s_load_dword s29, s[4:5], 0x0
	s_mul_i32 s30, s6, s19
	s_mul_hi_u32 s31, s6, s18
	s_mul_i32 s28, s6, s18
	v_xor_b32_e32 v9, 16, v0
	v_xor_b32_e32 v10, 8, v0
	s_mul_i32 s33, s7, s18
	v_xor_b32_e32 v11, 4, v0
	v_xor_b32_e32 v12, 2, v0
	v_cmp_gt_i32_e64 s3, 32, v9
	v_xor_b32_e32 v17, 1, v0
	s_waitcnt vmcnt(0)
	v_cmp_eq_f64_e32 vcc_lo, 0, v[5:6]
	v_cmp_eq_f64_e64 s2, 0, v[7:8]
	v_lshlrev_b32_e32 v18, 4, v15
	s_waitcnt lgkmcnt(0)
	s_add_u32 s8, s8, s24
	s_addc_u32 s9, s9, s25
	v_cndmask_b32_e64 v19, v0, v9, s3
	s_load_dwordx2 s[26:27], s[8:9], 0x0
	v_cmp_gt_i32_e64 s3, 32, v10
	v_mov_b32_e32 v16, v14
	s_mul_i32 s34, s18, s19
	s_mul_hi_u32 s35, s18, s18
	v_cmp_eq_u32_e64 s1, 31, v15
	v_cndmask_b32_e64 v20, v0, v10, s3
	v_cmp_gt_i32_e64 s3, 32, v11
	v_cmp_gt_u64_e64 s0, s[18:19], v[15:16]
	s_mov_b32 s17, 0
	v_lshlrev_b32_e32 v29, 2, v20
	v_cndmask_b32_e64 v11, v0, v11, s3
	v_cmp_gt_i32_e64 s3, 32, v12
	v_lshlrev_b32_e32 v30, 2, v11
	v_cndmask_b32_e64 v12, v0, v12, s3
	v_cmp_gt_i32_e64 s3, 32, v17
	s_waitcnt lgkmcnt(0)
	s_sub_u32 s4, s26, s16
	s_subb_u32 s5, s27, 0
	s_add_u32 s6, s8, 8
	s_addc_u32 s7, s9, 0
	s_add_u32 s8, s10, s24
	s_addc_u32 s9, s11, s25
	s_cmp_eq_u64 s[10:11], 0
	v_mad_u64_u32 v[9:10], null, s18, s4, v[13:14]
	s_cselect_b32 s7, s7, s9
	s_cselect_b32 s6, s6, s8
	v_cndmask_b32_e64 v17, v0, v17, s3
	s_load_dwordx2 s[8:9], s[6:7], 0x0
	s_mul_i32 s3, s19, s4
	s_mul_i32 s6, s18, s5
	v_lshlrev_b32_e32 v31, 2, v12
	v_add3_u32 v10, s6, s3, v10
	v_add_co_u32 v11, s3, s22, v18
	v_add_co_ci_u32_e64 v12, null, s23, 0, s3
	v_lshlrev_b32_e32 v0, 2, v19
	v_lshlrev_b32_e32 v32, 2, v17
	v_mul_lo_u32 v21, s19, v9
	v_mad_u64_u32 v[17:18], null, s18, v9, 0
	v_mul_lo_u32 v9, s18, v10
	v_add_co_u32 v19, s3, v11, 8
	v_add_co_ci_u32_e64 v20, null, 0, v12, s3
	s_waitcnt lgkmcnt(0)
	s_sub_u32 s6, s8, s16
	s_subb_u32 s7, s9, 0
	s_cmp_lg_u32 s29, 0
	v_cmp_lt_i64_e64 s22, s[26:27], s[8:9]
	s_cselect_b32 s3, -1, 0
	s_add_i32 s10, s31, s30
	s_and_b32 s23, vcc_lo, s2
	s_add_i32 s29, s10, s33
	v_add3_u32 v18, v18, v9, v21
	s_lshl_b64 s[8:9], s[28:29], 4
	s_mul_i32 s27, s18, s18
	s_add_u32 s24, s20, s8
	s_addc_u32 s25, s21, s9
	s_add_i32 s2, s35, s34
	s_lshl_b64 s[8:9], s[18:19], 4
	s_lshl_b64 s[10:11], s[18:19], 5
	s_add_i32 s26, s2, s34
	s_branch .LBB107_8
.LBB107_7:                              ;   in Loop: Header=BB107_8 Depth=1
	s_or_b32 exec_lo, exec_lo, s2
	v_add_co_u32 v13, vcc_lo, v13, 32
	v_add_co_ci_u32_e64 v14, null, 0, v14, vcc_lo
	v_add_co_u32 v17, s2, v17, s10
	v_add_co_ci_u32_e64 v18, null, s11, v18, s2
	v_cmp_le_i64_e32 vcc_lo, s[18:19], v[13:14]
	s_or_b32 s17, vcc_lo, s17
	s_andn2_b32 exec_lo, exec_lo, s17
	s_cbranch_execz .LBB107_24
.LBB107_8:                              ; =>This Loop Header: Depth=1
                                        ;     Child Loop BB107_12 Depth 2
                                        ;       Child Loop BB107_15 Depth 3
	v_mov_b32_e32 v9, 0
	v_mov_b32_e32 v11, 0
	;; [unrolled: 1-line block ×4, first 2 shown]
	s_andn2_b32 vcc_lo, exec_lo, s22
	s_cbranch_vccnz .LBB107_19
; %bb.9:                                ;   in Loop: Header=BB107_8 Depth=1
	v_mov_b32_e32 v9, 0
	v_mov_b32_e32 v11, 0
	s_waitcnt lgkmcnt(2)
	v_mov_b32_e32 v22, v18
	v_mov_b32_e32 v10, 0
	;; [unrolled: 1-line block ×4, first 2 shown]
	s_mov_b64 s[20:21], s[4:5]
	s_branch .LBB107_12
.LBB107_10:                             ;   in Loop: Header=BB107_12 Depth=2
	s_or_b32 exec_lo, exec_lo, s30
.LBB107_11:                             ;   in Loop: Header=BB107_12 Depth=2
	s_or_b32 exec_lo, exec_lo, s28
	s_add_u32 s20, s20, 1
	s_addc_u32 s21, s21, 0
	v_add_co_u32 v21, vcc_lo, v21, s27
	v_cmp_ge_i64_e64 s2, s[20:21], s[6:7]
	v_add_co_ci_u32_e64 v22, null, s26, v22, vcc_lo
	s_and_b32 vcc_lo, exec_lo, s2
	s_cbranch_vccnz .LBB107_19
.LBB107_12:                             ;   Parent Loop BB107_8 Depth=1
                                        ; =>  This Loop Header: Depth=2
                                        ;       Child Loop BB107_15 Depth 3
	s_and_saveexec_b32 s28, s0
	s_cbranch_execz .LBB107_11
; %bb.13:                               ;   in Loop: Header=BB107_12 Depth=2
	s_lshl_b64 s[30:31], s[20:21], 3
	s_mul_i32 s29, s20, s19
	s_add_u32 s30, s12, s30
	s_addc_u32 s31, s13, s31
	v_mov_b32_e32 v26, v16
	s_load_dwordx2 s[30:31], s[30:31], 0x0
	v_mov_b32_e32 v25, v15
	s_mul_i32 s33, s21, s18
	s_waitcnt lgkmcnt(0)
	s_sub_u32 s2, s30, s16
	s_subb_u32 s31, s31, 0
	v_mad_u64_u32 v[23:24], null, s8, s2, v[19:20]
	s_mul_i32 s2, s9, s2
	s_mul_i32 s31, s8, s31
	s_mul_hi_u32 s30, s20, s18
	s_add_i32 s29, s30, s29
	s_mov_b32 s30, 0
	v_add3_u32 v24, s31, s2, v24
	s_add_i32 s29, s29, s33
	s_mul_i32 s31, s20, s18
	s_branch .LBB107_15
.LBB107_14:                             ;   in Loop: Header=BB107_15 Depth=3
	v_lshlrev_b64 v[27:28], 3, v[27:28]
	v_add_co_u32 v27, vcc_lo, s14, v27
	v_add_co_ci_u32_e64 v28, null, s15, v28, vcc_lo
	v_add_co_u32 v25, vcc_lo, v25, 32
	v_add_co_ci_u32_e64 v26, null, 0, v26, vcc_lo
	global_load_dwordx2 v[27:28], v[27:28], off
	global_load_dwordx4 v[33:36], v[23:24], off offset:-8
	v_add_co_u32 v23, s2, 0x200, v23
	v_cmp_le_i64_e32 vcc_lo, s[18:19], v[25:26]
	v_add_co_ci_u32_e64 v24, null, 0, v24, s2
	s_or_b32 s30, vcc_lo, s30
	s_waitcnt vmcnt(1)
	v_cvt_f64_f32_e32 v[37:38], v27
	v_cvt_f64_f32_e32 v[27:28], v28
	s_waitcnt vmcnt(0)
	v_fma_f64 v[11:12], v[37:38], v[33:34], v[11:12]
	v_fma_f64 v[9:10], v[27:28], v[33:34], v[9:10]
	v_fma_f64 v[11:12], -v[27:28], v[35:36], v[11:12]
	v_fma_f64 v[9:10], v[37:38], v[35:36], v[9:10]
	s_andn2_b32 exec_lo, exec_lo, s30
	s_cbranch_execz .LBB107_10
.LBB107_15:                             ;   Parent Loop BB107_8 Depth=1
                                        ;     Parent Loop BB107_12 Depth=2
                                        ; =>    This Inner Loop Header: Depth=3
	s_and_b32 vcc_lo, exec_lo, s3
	s_cbranch_vccz .LBB107_17
; %bb.16:                               ;   in Loop: Header=BB107_15 Depth=3
	v_add_co_u32 v27, vcc_lo, v25, s31
	v_add_co_ci_u32_e64 v28, null, s29, v26, vcc_lo
	v_mul_lo_u32 v33, v27, s19
	v_mul_lo_u32 v34, v28, s18
	v_mad_u64_u32 v[27:28], null, v27, s18, v[13:14]
	v_add3_u32 v28, v34, v28, v33
	s_cbranch_execnz .LBB107_14
	s_branch .LBB107_18
.LBB107_17:                             ;   in Loop: Header=BB107_15 Depth=3
                                        ; implicit-def: $vgpr27_vgpr28
.LBB107_18:                             ;   in Loop: Header=BB107_15 Depth=3
	v_add_co_u32 v27, vcc_lo, v21, v25
	v_add_co_ci_u32_e64 v28, null, v22, v26, vcc_lo
	s_branch .LBB107_14
.LBB107_19:                             ;   in Loop: Header=BB107_8 Depth=1
	s_waitcnt lgkmcnt(3)
	ds_bpermute_b32 v21, v0, v11
	s_waitcnt lgkmcnt(3)
	ds_bpermute_b32 v22, v0, v12
	;; [unrolled: 2-line block ×4, first 2 shown]
	s_waitcnt lgkmcnt(2)
	v_add_f64 v[11:12], v[11:12], v[21:22]
	s_waitcnt lgkmcnt(0)
	v_add_f64 v[9:10], v[9:10], v[23:24]
	ds_bpermute_b32 v21, v29, v11
	ds_bpermute_b32 v22, v29, v12
	ds_bpermute_b32 v23, v29, v9
	ds_bpermute_b32 v24, v29, v10
	s_waitcnt lgkmcnt(2)
	v_add_f64 v[11:12], v[11:12], v[21:22]
	s_waitcnt lgkmcnt(0)
	v_add_f64 v[9:10], v[9:10], v[23:24]
	ds_bpermute_b32 v21, v30, v11
	ds_bpermute_b32 v22, v30, v12
	ds_bpermute_b32 v23, v30, v9
	ds_bpermute_b32 v24, v30, v10
	;; [unrolled: 8-line block ×4, first 2 shown]
	s_and_saveexec_b32 s2, s1
	s_cbranch_execz .LBB107_7
; %bb.20:                               ;   in Loop: Header=BB107_8 Depth=1
	s_waitcnt lgkmcnt(0)
	v_add_f64 v[11:12], v[11:12], v[23:24]
	v_add_f64 v[21:22], v[9:10], v[21:22]
	v_mul_f64 v[9:10], v[11:12], -v[3:4]
	v_mul_f64 v[11:12], v[1:2], v[11:12]
	v_fma_f64 v[9:10], v[1:2], v[21:22], v[9:10]
	v_fma_f64 v[11:12], v[3:4], v[21:22], v[11:12]
	v_lshlrev_b64 v[21:22], 4, v[13:14]
	s_and_saveexec_b32 s20, s23
	s_xor_b32 s20, exec_lo, s20
	s_cbranch_execz .LBB107_22
; %bb.21:                               ;   in Loop: Header=BB107_8 Depth=1
	v_add_co_u32 v21, vcc_lo, s24, v21
	v_add_co_ci_u32_e64 v22, null, s25, v22, vcc_lo
	global_store_dwordx4 v[21:22], v[9:12], off
                                        ; implicit-def: $vgpr21_vgpr22
                                        ; implicit-def: $vgpr9_vgpr10
.LBB107_22:                             ;   in Loop: Header=BB107_8 Depth=1
	s_andn2_saveexec_b32 s20, s20
	s_cbranch_execz .LBB107_7
; %bb.23:                               ;   in Loop: Header=BB107_8 Depth=1
	v_add_co_u32 v25, vcc_lo, s24, v21
	v_add_co_ci_u32_e64 v26, null, s25, v22, vcc_lo
	global_load_dwordx4 v[21:24], v[25:26], off
	s_waitcnt vmcnt(0)
	v_fma_f64 v[9:10], v[5:6], v[21:22], v[9:10]
	v_fma_f64 v[11:12], v[7:8], v[21:22], v[11:12]
	v_fma_f64 v[9:10], -v[7:8], v[23:24], v[9:10]
	v_fma_f64 v[11:12], v[5:6], v[23:24], v[11:12]
	global_store_dwordx4 v[25:26], v[9:12], off
	s_branch .LBB107_7
.LBB107_24:
	s_endpgm
	.section	.rodata,"a",@progbits
	.p2align	6, 0x0
	.amdhsa_kernel _ZN9rocsparseL22bsrxmvn_general_kernelILj1024ELj32E21rocsparse_complex_numIdEllS1_IfES2_S2_EEv20rocsparse_direction_NS_24const_host_device_scalarIT1_EET3_PKS8_PKT2_SD_SA_PKT4_S8_PKT5_S7_PT6_21rocsparse_index_base_b
		.amdhsa_group_segment_fixed_size 0
		.amdhsa_private_segment_fixed_size 0
		.amdhsa_kernarg_size 120
		.amdhsa_user_sgpr_count 6
		.amdhsa_user_sgpr_private_segment_buffer 1
		.amdhsa_user_sgpr_dispatch_ptr 0
		.amdhsa_user_sgpr_queue_ptr 0
		.amdhsa_user_sgpr_kernarg_segment_ptr 1
		.amdhsa_user_sgpr_dispatch_id 0
		.amdhsa_user_sgpr_flat_scratch_init 0
		.amdhsa_user_sgpr_private_segment_size 0
		.amdhsa_wavefront_size32 1
		.amdhsa_uses_dynamic_stack 0
		.amdhsa_system_sgpr_private_segment_wavefront_offset 0
		.amdhsa_system_sgpr_workgroup_id_x 1
		.amdhsa_system_sgpr_workgroup_id_y 0
		.amdhsa_system_sgpr_workgroup_id_z 0
		.amdhsa_system_sgpr_workgroup_info 0
		.amdhsa_system_vgpr_workitem_id 0
		.amdhsa_next_free_vgpr 39
		.amdhsa_next_free_sgpr 36
		.amdhsa_reserve_vcc 1
		.amdhsa_reserve_flat_scratch 0
		.amdhsa_float_round_mode_32 0
		.amdhsa_float_round_mode_16_64 0
		.amdhsa_float_denorm_mode_32 3
		.amdhsa_float_denorm_mode_16_64 3
		.amdhsa_dx10_clamp 1
		.amdhsa_ieee_mode 1
		.amdhsa_fp16_overflow 0
		.amdhsa_workgroup_processor_mode 1
		.amdhsa_memory_ordered 1
		.amdhsa_forward_progress 1
		.amdhsa_shared_vgpr_count 0
		.amdhsa_exception_fp_ieee_invalid_op 0
		.amdhsa_exception_fp_denorm_src 0
		.amdhsa_exception_fp_ieee_div_zero 0
		.amdhsa_exception_fp_ieee_overflow 0
		.amdhsa_exception_fp_ieee_underflow 0
		.amdhsa_exception_fp_ieee_inexact 0
		.amdhsa_exception_int_div_zero 0
	.end_amdhsa_kernel
	.section	.text._ZN9rocsparseL22bsrxmvn_general_kernelILj1024ELj32E21rocsparse_complex_numIdEllS1_IfES2_S2_EEv20rocsparse_direction_NS_24const_host_device_scalarIT1_EET3_PKS8_PKT2_SD_SA_PKT4_S8_PKT5_S7_PT6_21rocsparse_index_base_b,"axG",@progbits,_ZN9rocsparseL22bsrxmvn_general_kernelILj1024ELj32E21rocsparse_complex_numIdEllS1_IfES2_S2_EEv20rocsparse_direction_NS_24const_host_device_scalarIT1_EET3_PKS8_PKT2_SD_SA_PKT4_S8_PKT5_S7_PT6_21rocsparse_index_base_b,comdat
.Lfunc_end107:
	.size	_ZN9rocsparseL22bsrxmvn_general_kernelILj1024ELj32E21rocsparse_complex_numIdEllS1_IfES2_S2_EEv20rocsparse_direction_NS_24const_host_device_scalarIT1_EET3_PKS8_PKT2_SD_SA_PKT4_S8_PKT5_S7_PT6_21rocsparse_index_base_b, .Lfunc_end107-_ZN9rocsparseL22bsrxmvn_general_kernelILj1024ELj32E21rocsparse_complex_numIdEllS1_IfES2_S2_EEv20rocsparse_direction_NS_24const_host_device_scalarIT1_EET3_PKS8_PKT2_SD_SA_PKT4_S8_PKT5_S7_PT6_21rocsparse_index_base_b
                                        ; -- End function
	.set _ZN9rocsparseL22bsrxmvn_general_kernelILj1024ELj32E21rocsparse_complex_numIdEllS1_IfES2_S2_EEv20rocsparse_direction_NS_24const_host_device_scalarIT1_EET3_PKS8_PKT2_SD_SA_PKT4_S8_PKT5_S7_PT6_21rocsparse_index_base_b.num_vgpr, 39
	.set _ZN9rocsparseL22bsrxmvn_general_kernelILj1024ELj32E21rocsparse_complex_numIdEllS1_IfES2_S2_EEv20rocsparse_direction_NS_24const_host_device_scalarIT1_EET3_PKS8_PKT2_SD_SA_PKT4_S8_PKT5_S7_PT6_21rocsparse_index_base_b.num_agpr, 0
	.set _ZN9rocsparseL22bsrxmvn_general_kernelILj1024ELj32E21rocsparse_complex_numIdEllS1_IfES2_S2_EEv20rocsparse_direction_NS_24const_host_device_scalarIT1_EET3_PKS8_PKT2_SD_SA_PKT4_S8_PKT5_S7_PT6_21rocsparse_index_base_b.numbered_sgpr, 36
	.set _ZN9rocsparseL22bsrxmvn_general_kernelILj1024ELj32E21rocsparse_complex_numIdEllS1_IfES2_S2_EEv20rocsparse_direction_NS_24const_host_device_scalarIT1_EET3_PKS8_PKT2_SD_SA_PKT4_S8_PKT5_S7_PT6_21rocsparse_index_base_b.num_named_barrier, 0
	.set _ZN9rocsparseL22bsrxmvn_general_kernelILj1024ELj32E21rocsparse_complex_numIdEllS1_IfES2_S2_EEv20rocsparse_direction_NS_24const_host_device_scalarIT1_EET3_PKS8_PKT2_SD_SA_PKT4_S8_PKT5_S7_PT6_21rocsparse_index_base_b.private_seg_size, 0
	.set _ZN9rocsparseL22bsrxmvn_general_kernelILj1024ELj32E21rocsparse_complex_numIdEllS1_IfES2_S2_EEv20rocsparse_direction_NS_24const_host_device_scalarIT1_EET3_PKS8_PKT2_SD_SA_PKT4_S8_PKT5_S7_PT6_21rocsparse_index_base_b.uses_vcc, 1
	.set _ZN9rocsparseL22bsrxmvn_general_kernelILj1024ELj32E21rocsparse_complex_numIdEllS1_IfES2_S2_EEv20rocsparse_direction_NS_24const_host_device_scalarIT1_EET3_PKS8_PKT2_SD_SA_PKT4_S8_PKT5_S7_PT6_21rocsparse_index_base_b.uses_flat_scratch, 0
	.set _ZN9rocsparseL22bsrxmvn_general_kernelILj1024ELj32E21rocsparse_complex_numIdEllS1_IfES2_S2_EEv20rocsparse_direction_NS_24const_host_device_scalarIT1_EET3_PKS8_PKT2_SD_SA_PKT4_S8_PKT5_S7_PT6_21rocsparse_index_base_b.has_dyn_sized_stack, 0
	.set _ZN9rocsparseL22bsrxmvn_general_kernelILj1024ELj32E21rocsparse_complex_numIdEllS1_IfES2_S2_EEv20rocsparse_direction_NS_24const_host_device_scalarIT1_EET3_PKS8_PKT2_SD_SA_PKT4_S8_PKT5_S7_PT6_21rocsparse_index_base_b.has_recursion, 0
	.set _ZN9rocsparseL22bsrxmvn_general_kernelILj1024ELj32E21rocsparse_complex_numIdEllS1_IfES2_S2_EEv20rocsparse_direction_NS_24const_host_device_scalarIT1_EET3_PKS8_PKT2_SD_SA_PKT4_S8_PKT5_S7_PT6_21rocsparse_index_base_b.has_indirect_call, 0
	.section	.AMDGPU.csdata,"",@progbits
; Kernel info:
; codeLenInByte = 1680
; TotalNumSgprs: 38
; NumVgprs: 39
; ScratchSize: 0
; MemoryBound: 0
; FloatMode: 240
; IeeeMode: 1
; LDSByteSize: 0 bytes/workgroup (compile time only)
; SGPRBlocks: 0
; VGPRBlocks: 4
; NumSGPRsForWavesPerEU: 38
; NumVGPRsForWavesPerEU: 39
; Occupancy: 16
; WaveLimiterHint : 0
; COMPUTE_PGM_RSRC2:SCRATCH_EN: 0
; COMPUTE_PGM_RSRC2:USER_SGPR: 6
; COMPUTE_PGM_RSRC2:TRAP_HANDLER: 0
; COMPUTE_PGM_RSRC2:TGID_X_EN: 1
; COMPUTE_PGM_RSRC2:TGID_Y_EN: 0
; COMPUTE_PGM_RSRC2:TGID_Z_EN: 0
; COMPUTE_PGM_RSRC2:TIDIG_COMP_CNT: 0
	.section	.AMDGPU.gpr_maximums,"",@progbits
	.set amdgpu.max_num_vgpr, 0
	.set amdgpu.max_num_agpr, 0
	.set amdgpu.max_num_sgpr, 0
	.section	.AMDGPU.csdata,"",@progbits
	.type	__hip_cuid_78ad6f9fa846cd75,@object ; @__hip_cuid_78ad6f9fa846cd75
	.section	.bss,"aw",@nobits
	.globl	__hip_cuid_78ad6f9fa846cd75
__hip_cuid_78ad6f9fa846cd75:
	.byte	0                               ; 0x0
	.size	__hip_cuid_78ad6f9fa846cd75, 1

	.ident	"AMD clang version 22.0.0git (https://github.com/RadeonOpenCompute/llvm-project roc-7.2.4 26084 f58b06dce1f9c15707c5f808fd002e18c2accf7e)"
	.section	".note.GNU-stack","",@progbits
	.addrsig
	.addrsig_sym __hip_cuid_78ad6f9fa846cd75
	.amdgpu_metadata
---
amdhsa.kernels:
  - .args:
      - .offset:         0
        .size:           4
        .value_kind:     by_value
      - .offset:         8
        .size:           8
        .value_kind:     by_value
      - .offset:         16
        .size:           4
        .value_kind:     by_value
      - .actual_access:  read_only
        .address_space:  global
        .offset:         24
        .size:           8
        .value_kind:     global_buffer
      - .actual_access:  read_only
        .address_space:  global
        .offset:         32
        .size:           8
        .value_kind:     global_buffer
      - .actual_access:  read_only
        .address_space:  global
        .offset:         40
        .size:           8
        .value_kind:     global_buffer
      - .actual_access:  read_only
        .address_space:  global
        .offset:         48
        .size:           8
        .value_kind:     global_buffer
      - .actual_access:  read_only
        .address_space:  global
        .offset:         56
        .size:           8
        .value_kind:     global_buffer
      - .offset:         64
        .size:           4
        .value_kind:     by_value
      - .actual_access:  read_only
        .address_space:  global
        .offset:         72
        .size:           8
        .value_kind:     global_buffer
      - .offset:         80
        .size:           8
        .value_kind:     by_value
      - .address_space:  global
        .offset:         88
        .size:           8
        .value_kind:     global_buffer
      - .offset:         96
        .size:           4
        .value_kind:     by_value
      - .offset:         100
        .size:           1
        .value_kind:     by_value
    .group_segment_fixed_size: 0
    .kernarg_segment_align: 8
    .kernarg_segment_size: 104
    .language:       OpenCL C
    .language_version:
      - 2
      - 0
    .max_flat_workgroup_size: 64
    .name:           _ZN9rocsparseL22bsrxmvn_general_kernelILj64ELj8EfiifffEEv20rocsparse_direction_NS_24const_host_device_scalarIT1_EET3_PKS5_PKT2_SA_S7_PKT4_S5_PKT5_S4_PT6_21rocsparse_index_base_b
    .private_segment_fixed_size: 0
    .sgpr_count:     34
    .sgpr_spill_count: 0
    .symbol:         _ZN9rocsparseL22bsrxmvn_general_kernelILj64ELj8EfiifffEEv20rocsparse_direction_NS_24const_host_device_scalarIT1_EET3_PKS5_PKT2_SA_S7_PKT4_S5_PKT5_S4_PT6_21rocsparse_index_base_b.kd
    .uniform_work_group_size: 1
    .uses_dynamic_stack: false
    .vgpr_count:     21
    .vgpr_spill_count: 0
    .wavefront_size: 32
    .workgroup_processor_mode: 1
  - .args:
      - .offset:         0
        .size:           4
        .value_kind:     by_value
      - .offset:         8
        .size:           8
        .value_kind:     by_value
      - .offset:         16
        .size:           4
        .value_kind:     by_value
      - .actual_access:  read_only
        .address_space:  global
        .offset:         24
        .size:           8
        .value_kind:     global_buffer
      - .actual_access:  read_only
        .address_space:  global
        .offset:         32
        .size:           8
        .value_kind:     global_buffer
      - .actual_access:  read_only
        .address_space:  global
        .offset:         40
        .size:           8
        .value_kind:     global_buffer
      - .actual_access:  read_only
        .address_space:  global
        .offset:         48
        .size:           8
        .value_kind:     global_buffer
      - .actual_access:  read_only
        .address_space:  global
        .offset:         56
        .size:           8
        .value_kind:     global_buffer
      - .offset:         64
        .size:           4
        .value_kind:     by_value
      - .actual_access:  read_only
        .address_space:  global
        .offset:         72
        .size:           8
        .value_kind:     global_buffer
      - .offset:         80
        .size:           8
        .value_kind:     by_value
      - .address_space:  global
        .offset:         88
        .size:           8
        .value_kind:     global_buffer
      - .offset:         96
        .size:           4
        .value_kind:     by_value
      - .offset:         100
        .size:           1
        .value_kind:     by_value
    .group_segment_fixed_size: 0
    .kernarg_segment_align: 8
    .kernarg_segment_size: 104
    .language:       OpenCL C
    .language_version:
      - 2
      - 0
    .max_flat_workgroup_size: 256
    .name:           _ZN9rocsparseL22bsrxmvn_general_kernelILj256ELj16EfiifffEEv20rocsparse_direction_NS_24const_host_device_scalarIT1_EET3_PKS5_PKT2_SA_S7_PKT4_S5_PKT5_S4_PT6_21rocsparse_index_base_b
    .private_segment_fixed_size: 0
    .sgpr_count:     34
    .sgpr_spill_count: 0
    .symbol:         _ZN9rocsparseL22bsrxmvn_general_kernelILj256ELj16EfiifffEEv20rocsparse_direction_NS_24const_host_device_scalarIT1_EET3_PKS5_PKT2_SA_S7_PKT4_S5_PKT5_S4_PT6_21rocsparse_index_base_b.kd
    .uniform_work_group_size: 1
    .uses_dynamic_stack: false
    .vgpr_count:     22
    .vgpr_spill_count: 0
    .wavefront_size: 32
    .workgroup_processor_mode: 1
  - .args:
      - .offset:         0
        .size:           4
        .value_kind:     by_value
      - .offset:         8
        .size:           8
        .value_kind:     by_value
      - .offset:         16
        .size:           4
        .value_kind:     by_value
      - .actual_access:  read_only
        .address_space:  global
        .offset:         24
        .size:           8
        .value_kind:     global_buffer
      - .actual_access:  read_only
        .address_space:  global
        .offset:         32
        .size:           8
        .value_kind:     global_buffer
      - .actual_access:  read_only
        .address_space:  global
        .offset:         40
        .size:           8
        .value_kind:     global_buffer
      - .actual_access:  read_only
        .address_space:  global
        .offset:         48
        .size:           8
        .value_kind:     global_buffer
      - .actual_access:  read_only
        .address_space:  global
        .offset:         56
        .size:           8
        .value_kind:     global_buffer
      - .offset:         64
        .size:           4
        .value_kind:     by_value
      - .actual_access:  read_only
        .address_space:  global
        .offset:         72
        .size:           8
        .value_kind:     global_buffer
      - .offset:         80
        .size:           8
        .value_kind:     by_value
      - .address_space:  global
        .offset:         88
        .size:           8
        .value_kind:     global_buffer
      - .offset:         96
        .size:           4
        .value_kind:     by_value
      - .offset:         100
        .size:           1
        .value_kind:     by_value
    .group_segment_fixed_size: 0
    .kernarg_segment_align: 8
    .kernarg_segment_size: 104
    .language:       OpenCL C
    .language_version:
      - 2
      - 0
    .max_flat_workgroup_size: 1024
    .name:           _ZN9rocsparseL22bsrxmvn_general_kernelILj1024ELj32EfiifffEEv20rocsparse_direction_NS_24const_host_device_scalarIT1_EET3_PKS5_PKT2_SA_S7_PKT4_S5_PKT5_S4_PT6_21rocsparse_index_base_b
    .private_segment_fixed_size: 0
    .sgpr_count:     34
    .sgpr_spill_count: 0
    .symbol:         _ZN9rocsparseL22bsrxmvn_general_kernelILj1024ELj32EfiifffEEv20rocsparse_direction_NS_24const_host_device_scalarIT1_EET3_PKS5_PKT2_SA_S7_PKT4_S5_PKT5_S4_PT6_21rocsparse_index_base_b.kd
    .uniform_work_group_size: 1
    .uses_dynamic_stack: false
    .vgpr_count:     23
    .vgpr_spill_count: 0
    .wavefront_size: 32
    .workgroup_processor_mode: 1
  - .args:
      - .offset:         0
        .size:           4
        .value_kind:     by_value
      - .offset:         8
        .size:           8
        .value_kind:     by_value
      - .offset:         16
        .size:           4
        .value_kind:     by_value
      - .actual_access:  read_only
        .address_space:  global
        .offset:         24
        .size:           8
        .value_kind:     global_buffer
      - .actual_access:  read_only
        .address_space:  global
        .offset:         32
        .size:           8
        .value_kind:     global_buffer
      - .actual_access:  read_only
        .address_space:  global
        .offset:         40
        .size:           8
        .value_kind:     global_buffer
      - .actual_access:  read_only
        .address_space:  global
        .offset:         48
        .size:           8
        .value_kind:     global_buffer
      - .actual_access:  read_only
        .address_space:  global
        .offset:         56
        .size:           8
        .value_kind:     global_buffer
      - .offset:         64
        .size:           4
        .value_kind:     by_value
      - .actual_access:  read_only
        .address_space:  global
        .offset:         72
        .size:           8
        .value_kind:     global_buffer
      - .offset:         80
        .size:           8
        .value_kind:     by_value
      - .address_space:  global
        .offset:         88
        .size:           8
        .value_kind:     global_buffer
      - .offset:         96
        .size:           4
        .value_kind:     by_value
      - .offset:         100
        .size:           1
        .value_kind:     by_value
    .group_segment_fixed_size: 0
    .kernarg_segment_align: 8
    .kernarg_segment_size: 104
    .language:       OpenCL C
    .language_version:
      - 2
      - 0
    .max_flat_workgroup_size: 64
    .name:           _ZN9rocsparseL22bsrxmvn_general_kernelILj64ELj8EdiidddEEv20rocsparse_direction_NS_24const_host_device_scalarIT1_EET3_PKS5_PKT2_SA_S7_PKT4_S5_PKT5_S4_PT6_21rocsparse_index_base_b
    .private_segment_fixed_size: 0
    .sgpr_count:     32
    .sgpr_spill_count: 0
    .symbol:         _ZN9rocsparseL22bsrxmvn_general_kernelILj64ELj8EdiidddEEv20rocsparse_direction_NS_24const_host_device_scalarIT1_EET3_PKS5_PKT2_SA_S7_PKT4_S5_PKT5_S4_PT6_21rocsparse_index_base_b.kd
    .uniform_work_group_size: 1
    .uses_dynamic_stack: false
    .vgpr_count:     26
    .vgpr_spill_count: 0
    .wavefront_size: 32
    .workgroup_processor_mode: 1
  - .args:
      - .offset:         0
        .size:           4
        .value_kind:     by_value
      - .offset:         8
        .size:           8
        .value_kind:     by_value
      - .offset:         16
        .size:           4
        .value_kind:     by_value
      - .actual_access:  read_only
        .address_space:  global
        .offset:         24
        .size:           8
        .value_kind:     global_buffer
      - .actual_access:  read_only
        .address_space:  global
        .offset:         32
        .size:           8
        .value_kind:     global_buffer
      - .actual_access:  read_only
        .address_space:  global
        .offset:         40
        .size:           8
        .value_kind:     global_buffer
      - .actual_access:  read_only
        .address_space:  global
        .offset:         48
        .size:           8
        .value_kind:     global_buffer
      - .actual_access:  read_only
        .address_space:  global
        .offset:         56
        .size:           8
        .value_kind:     global_buffer
      - .offset:         64
        .size:           4
        .value_kind:     by_value
      - .actual_access:  read_only
        .address_space:  global
        .offset:         72
        .size:           8
        .value_kind:     global_buffer
      - .offset:         80
        .size:           8
        .value_kind:     by_value
      - .address_space:  global
        .offset:         88
        .size:           8
        .value_kind:     global_buffer
      - .offset:         96
        .size:           4
        .value_kind:     by_value
      - .offset:         100
        .size:           1
        .value_kind:     by_value
    .group_segment_fixed_size: 0
    .kernarg_segment_align: 8
    .kernarg_segment_size: 104
    .language:       OpenCL C
    .language_version:
      - 2
      - 0
    .max_flat_workgroup_size: 256
    .name:           _ZN9rocsparseL22bsrxmvn_general_kernelILj256ELj16EdiidddEEv20rocsparse_direction_NS_24const_host_device_scalarIT1_EET3_PKS5_PKT2_SA_S7_PKT4_S5_PKT5_S4_PT6_21rocsparse_index_base_b
    .private_segment_fixed_size: 0
    .sgpr_count:     32
    .sgpr_spill_count: 0
    .symbol:         _ZN9rocsparseL22bsrxmvn_general_kernelILj256ELj16EdiidddEEv20rocsparse_direction_NS_24const_host_device_scalarIT1_EET3_PKS5_PKT2_SA_S7_PKT4_S5_PKT5_S4_PT6_21rocsparse_index_base_b.kd
    .uniform_work_group_size: 1
    .uses_dynamic_stack: false
    .vgpr_count:     27
    .vgpr_spill_count: 0
    .wavefront_size: 32
    .workgroup_processor_mode: 1
  - .args:
      - .offset:         0
        .size:           4
        .value_kind:     by_value
      - .offset:         8
        .size:           8
        .value_kind:     by_value
      - .offset:         16
        .size:           4
        .value_kind:     by_value
      - .actual_access:  read_only
        .address_space:  global
        .offset:         24
        .size:           8
        .value_kind:     global_buffer
      - .actual_access:  read_only
        .address_space:  global
        .offset:         32
        .size:           8
        .value_kind:     global_buffer
      - .actual_access:  read_only
        .address_space:  global
        .offset:         40
        .size:           8
        .value_kind:     global_buffer
      - .actual_access:  read_only
        .address_space:  global
        .offset:         48
        .size:           8
        .value_kind:     global_buffer
      - .actual_access:  read_only
        .address_space:  global
        .offset:         56
        .size:           8
        .value_kind:     global_buffer
      - .offset:         64
        .size:           4
        .value_kind:     by_value
      - .actual_access:  read_only
        .address_space:  global
        .offset:         72
        .size:           8
        .value_kind:     global_buffer
      - .offset:         80
        .size:           8
        .value_kind:     by_value
      - .address_space:  global
        .offset:         88
        .size:           8
        .value_kind:     global_buffer
      - .offset:         96
        .size:           4
        .value_kind:     by_value
      - .offset:         100
        .size:           1
        .value_kind:     by_value
    .group_segment_fixed_size: 0
    .kernarg_segment_align: 8
    .kernarg_segment_size: 104
    .language:       OpenCL C
    .language_version:
      - 2
      - 0
    .max_flat_workgroup_size: 1024
    .name:           _ZN9rocsparseL22bsrxmvn_general_kernelILj1024ELj32EdiidddEEv20rocsparse_direction_NS_24const_host_device_scalarIT1_EET3_PKS5_PKT2_SA_S7_PKT4_S5_PKT5_S4_PT6_21rocsparse_index_base_b
    .private_segment_fixed_size: 0
    .sgpr_count:     32
    .sgpr_spill_count: 0
    .symbol:         _ZN9rocsparseL22bsrxmvn_general_kernelILj1024ELj32EdiidddEEv20rocsparse_direction_NS_24const_host_device_scalarIT1_EET3_PKS5_PKT2_SA_S7_PKT4_S5_PKT5_S4_PT6_21rocsparse_index_base_b.kd
    .uniform_work_group_size: 1
    .uses_dynamic_stack: false
    .vgpr_count:     28
    .vgpr_spill_count: 0
    .wavefront_size: 32
    .workgroup_processor_mode: 1
  - .args:
      - .offset:         0
        .size:           4
        .value_kind:     by_value
      - .offset:         8
        .size:           8
        .value_kind:     by_value
      - .offset:         16
        .size:           4
        .value_kind:     by_value
      - .actual_access:  read_only
        .address_space:  global
        .offset:         24
        .size:           8
        .value_kind:     global_buffer
      - .actual_access:  read_only
        .address_space:  global
        .offset:         32
        .size:           8
        .value_kind:     global_buffer
      - .actual_access:  read_only
        .address_space:  global
        .offset:         40
        .size:           8
        .value_kind:     global_buffer
      - .actual_access:  read_only
        .address_space:  global
        .offset:         48
        .size:           8
        .value_kind:     global_buffer
      - .actual_access:  read_only
        .address_space:  global
        .offset:         56
        .size:           8
        .value_kind:     global_buffer
      - .offset:         64
        .size:           4
        .value_kind:     by_value
      - .actual_access:  read_only
        .address_space:  global
        .offset:         72
        .size:           8
        .value_kind:     global_buffer
      - .offset:         80
        .size:           8
        .value_kind:     by_value
      - .address_space:  global
        .offset:         88
        .size:           8
        .value_kind:     global_buffer
      - .offset:         96
        .size:           4
        .value_kind:     by_value
      - .offset:         100
        .size:           1
        .value_kind:     by_value
    .group_segment_fixed_size: 0
    .kernarg_segment_align: 8
    .kernarg_segment_size: 104
    .language:       OpenCL C
    .language_version:
      - 2
      - 0
    .max_flat_workgroup_size: 64
    .name:           _ZN9rocsparseL22bsrxmvn_general_kernelILj64ELj8E21rocsparse_complex_numIfEiiS2_S2_S2_EEv20rocsparse_direction_NS_24const_host_device_scalarIT1_EET3_PKS7_PKT2_SC_S9_PKT4_S7_PKT5_S6_PT6_21rocsparse_index_base_b
    .private_segment_fixed_size: 0
    .sgpr_count:     32
    .sgpr_spill_count: 0
    .symbol:         _ZN9rocsparseL22bsrxmvn_general_kernelILj64ELj8E21rocsparse_complex_numIfEiiS2_S2_S2_EEv20rocsparse_direction_NS_24const_host_device_scalarIT1_EET3_PKS7_PKT2_SC_S9_PKT4_S7_PKT5_S6_PT6_21rocsparse_index_base_b.kd
    .uniform_work_group_size: 1
    .uses_dynamic_stack: false
    .vgpr_count:     26
    .vgpr_spill_count: 0
    .wavefront_size: 32
    .workgroup_processor_mode: 1
  - .args:
      - .offset:         0
        .size:           4
        .value_kind:     by_value
      - .offset:         8
        .size:           8
        .value_kind:     by_value
      - .offset:         16
        .size:           4
        .value_kind:     by_value
      - .actual_access:  read_only
        .address_space:  global
        .offset:         24
        .size:           8
        .value_kind:     global_buffer
      - .actual_access:  read_only
        .address_space:  global
        .offset:         32
        .size:           8
        .value_kind:     global_buffer
      - .actual_access:  read_only
        .address_space:  global
        .offset:         40
        .size:           8
        .value_kind:     global_buffer
      - .actual_access:  read_only
        .address_space:  global
        .offset:         48
        .size:           8
        .value_kind:     global_buffer
      - .actual_access:  read_only
        .address_space:  global
        .offset:         56
        .size:           8
        .value_kind:     global_buffer
      - .offset:         64
        .size:           4
        .value_kind:     by_value
      - .actual_access:  read_only
        .address_space:  global
        .offset:         72
        .size:           8
        .value_kind:     global_buffer
      - .offset:         80
        .size:           8
        .value_kind:     by_value
      - .address_space:  global
        .offset:         88
        .size:           8
        .value_kind:     global_buffer
      - .offset:         96
        .size:           4
        .value_kind:     by_value
      - .offset:         100
        .size:           1
        .value_kind:     by_value
    .group_segment_fixed_size: 0
    .kernarg_segment_align: 8
    .kernarg_segment_size: 104
    .language:       OpenCL C
    .language_version:
      - 2
      - 0
    .max_flat_workgroup_size: 256
    .name:           _ZN9rocsparseL22bsrxmvn_general_kernelILj256ELj16E21rocsparse_complex_numIfEiiS2_S2_S2_EEv20rocsparse_direction_NS_24const_host_device_scalarIT1_EET3_PKS7_PKT2_SC_S9_PKT4_S7_PKT5_S6_PT6_21rocsparse_index_base_b
    .private_segment_fixed_size: 0
    .sgpr_count:     32
    .sgpr_spill_count: 0
    .symbol:         _ZN9rocsparseL22bsrxmvn_general_kernelILj256ELj16E21rocsparse_complex_numIfEiiS2_S2_S2_EEv20rocsparse_direction_NS_24const_host_device_scalarIT1_EET3_PKS7_PKT2_SC_S9_PKT4_S7_PKT5_S6_PT6_21rocsparse_index_base_b.kd
    .uniform_work_group_size: 1
    .uses_dynamic_stack: false
    .vgpr_count:     27
    .vgpr_spill_count: 0
    .wavefront_size: 32
    .workgroup_processor_mode: 1
  - .args:
      - .offset:         0
        .size:           4
        .value_kind:     by_value
      - .offset:         8
        .size:           8
        .value_kind:     by_value
      - .offset:         16
        .size:           4
        .value_kind:     by_value
      - .actual_access:  read_only
        .address_space:  global
        .offset:         24
        .size:           8
        .value_kind:     global_buffer
      - .actual_access:  read_only
        .address_space:  global
        .offset:         32
        .size:           8
        .value_kind:     global_buffer
      - .actual_access:  read_only
        .address_space:  global
        .offset:         40
        .size:           8
        .value_kind:     global_buffer
      - .actual_access:  read_only
        .address_space:  global
        .offset:         48
        .size:           8
        .value_kind:     global_buffer
      - .actual_access:  read_only
        .address_space:  global
        .offset:         56
        .size:           8
        .value_kind:     global_buffer
      - .offset:         64
        .size:           4
        .value_kind:     by_value
      - .actual_access:  read_only
        .address_space:  global
        .offset:         72
        .size:           8
        .value_kind:     global_buffer
      - .offset:         80
        .size:           8
        .value_kind:     by_value
      - .address_space:  global
        .offset:         88
        .size:           8
        .value_kind:     global_buffer
      - .offset:         96
        .size:           4
        .value_kind:     by_value
      - .offset:         100
        .size:           1
        .value_kind:     by_value
    .group_segment_fixed_size: 0
    .kernarg_segment_align: 8
    .kernarg_segment_size: 104
    .language:       OpenCL C
    .language_version:
      - 2
      - 0
    .max_flat_workgroup_size: 1024
    .name:           _ZN9rocsparseL22bsrxmvn_general_kernelILj1024ELj32E21rocsparse_complex_numIfEiiS2_S2_S2_EEv20rocsparse_direction_NS_24const_host_device_scalarIT1_EET3_PKS7_PKT2_SC_S9_PKT4_S7_PKT5_S6_PT6_21rocsparse_index_base_b
    .private_segment_fixed_size: 0
    .sgpr_count:     32
    .sgpr_spill_count: 0
    .symbol:         _ZN9rocsparseL22bsrxmvn_general_kernelILj1024ELj32E21rocsparse_complex_numIfEiiS2_S2_S2_EEv20rocsparse_direction_NS_24const_host_device_scalarIT1_EET3_PKS7_PKT2_SC_S9_PKT4_S7_PKT5_S6_PT6_21rocsparse_index_base_b.kd
    .uniform_work_group_size: 1
    .uses_dynamic_stack: false
    .vgpr_count:     28
    .vgpr_spill_count: 0
    .wavefront_size: 32
    .workgroup_processor_mode: 1
  - .args:
      - .offset:         0
        .size:           4
        .value_kind:     by_value
      - .offset:         8
        .size:           16
        .value_kind:     by_value
      - .offset:         24
        .size:           4
        .value_kind:     by_value
      - .actual_access:  read_only
        .address_space:  global
        .offset:         32
        .size:           8
        .value_kind:     global_buffer
      - .actual_access:  read_only
        .address_space:  global
        .offset:         40
        .size:           8
        .value_kind:     global_buffer
      - .actual_access:  read_only
        .address_space:  global
        .offset:         48
        .size:           8
        .value_kind:     global_buffer
      - .actual_access:  read_only
        .address_space:  global
        .offset:         56
        .size:           8
        .value_kind:     global_buffer
      - .actual_access:  read_only
        .address_space:  global
        .offset:         64
        .size:           8
        .value_kind:     global_buffer
      - .offset:         72
        .size:           4
        .value_kind:     by_value
      - .actual_access:  read_only
        .address_space:  global
        .offset:         80
        .size:           8
        .value_kind:     global_buffer
      - .offset:         88
        .size:           16
        .value_kind:     by_value
      - .address_space:  global
        .offset:         104
        .size:           8
        .value_kind:     global_buffer
      - .offset:         112
        .size:           4
        .value_kind:     by_value
      - .offset:         116
        .size:           1
        .value_kind:     by_value
    .group_segment_fixed_size: 0
    .kernarg_segment_align: 8
    .kernarg_segment_size: 120
    .language:       OpenCL C
    .language_version:
      - 2
      - 0
    .max_flat_workgroup_size: 64
    .name:           _ZN9rocsparseL22bsrxmvn_general_kernelILj64ELj8E21rocsparse_complex_numIdEiiS2_S2_S2_EEv20rocsparse_direction_NS_24const_host_device_scalarIT1_EET3_PKS7_PKT2_SC_S9_PKT4_S7_PKT5_S6_PT6_21rocsparse_index_base_b
    .private_segment_fixed_size: 0
    .sgpr_count:     32
    .sgpr_spill_count: 0
    .symbol:         _ZN9rocsparseL22bsrxmvn_general_kernelILj64ELj8E21rocsparse_complex_numIdEiiS2_S2_S2_EEv20rocsparse_direction_NS_24const_host_device_scalarIT1_EET3_PKS7_PKT2_SC_S9_PKT4_S7_PKT5_S6_PT6_21rocsparse_index_base_b.kd
    .uniform_work_group_size: 1
    .uses_dynamic_stack: false
    .vgpr_count:     38
    .vgpr_spill_count: 0
    .wavefront_size: 32
    .workgroup_processor_mode: 1
  - .args:
      - .offset:         0
        .size:           4
        .value_kind:     by_value
      - .offset:         8
        .size:           16
        .value_kind:     by_value
      - .offset:         24
        .size:           4
        .value_kind:     by_value
      - .actual_access:  read_only
        .address_space:  global
        .offset:         32
        .size:           8
        .value_kind:     global_buffer
      - .actual_access:  read_only
        .address_space:  global
        .offset:         40
        .size:           8
        .value_kind:     global_buffer
      - .actual_access:  read_only
        .address_space:  global
        .offset:         48
        .size:           8
        .value_kind:     global_buffer
      - .actual_access:  read_only
        .address_space:  global
        .offset:         56
        .size:           8
        .value_kind:     global_buffer
      - .actual_access:  read_only
        .address_space:  global
        .offset:         64
        .size:           8
        .value_kind:     global_buffer
      - .offset:         72
        .size:           4
        .value_kind:     by_value
      - .actual_access:  read_only
        .address_space:  global
        .offset:         80
        .size:           8
        .value_kind:     global_buffer
      - .offset:         88
        .size:           16
        .value_kind:     by_value
      - .address_space:  global
        .offset:         104
        .size:           8
        .value_kind:     global_buffer
      - .offset:         112
        .size:           4
        .value_kind:     by_value
      - .offset:         116
        .size:           1
        .value_kind:     by_value
    .group_segment_fixed_size: 0
    .kernarg_segment_align: 8
    .kernarg_segment_size: 120
    .language:       OpenCL C
    .language_version:
      - 2
      - 0
    .max_flat_workgroup_size: 256
    .name:           _ZN9rocsparseL22bsrxmvn_general_kernelILj256ELj16E21rocsparse_complex_numIdEiiS2_S2_S2_EEv20rocsparse_direction_NS_24const_host_device_scalarIT1_EET3_PKS7_PKT2_SC_S9_PKT4_S7_PKT5_S6_PT6_21rocsparse_index_base_b
    .private_segment_fixed_size: 0
    .sgpr_count:     32
    .sgpr_spill_count: 0
    .symbol:         _ZN9rocsparseL22bsrxmvn_general_kernelILj256ELj16E21rocsparse_complex_numIdEiiS2_S2_S2_EEv20rocsparse_direction_NS_24const_host_device_scalarIT1_EET3_PKS7_PKT2_SC_S9_PKT4_S7_PKT5_S6_PT6_21rocsparse_index_base_b.kd
    .uniform_work_group_size: 1
    .uses_dynamic_stack: false
    .vgpr_count:     39
    .vgpr_spill_count: 0
    .wavefront_size: 32
    .workgroup_processor_mode: 1
  - .args:
      - .offset:         0
        .size:           4
        .value_kind:     by_value
      - .offset:         8
        .size:           16
        .value_kind:     by_value
      - .offset:         24
        .size:           4
        .value_kind:     by_value
      - .actual_access:  read_only
        .address_space:  global
        .offset:         32
        .size:           8
        .value_kind:     global_buffer
      - .actual_access:  read_only
        .address_space:  global
        .offset:         40
        .size:           8
        .value_kind:     global_buffer
      - .actual_access:  read_only
        .address_space:  global
        .offset:         48
        .size:           8
        .value_kind:     global_buffer
      - .actual_access:  read_only
        .address_space:  global
        .offset:         56
        .size:           8
        .value_kind:     global_buffer
      - .actual_access:  read_only
        .address_space:  global
        .offset:         64
        .size:           8
        .value_kind:     global_buffer
      - .offset:         72
        .size:           4
        .value_kind:     by_value
      - .actual_access:  read_only
        .address_space:  global
        .offset:         80
        .size:           8
        .value_kind:     global_buffer
      - .offset:         88
        .size:           16
        .value_kind:     by_value
      - .address_space:  global
        .offset:         104
        .size:           8
        .value_kind:     global_buffer
      - .offset:         112
        .size:           4
        .value_kind:     by_value
      - .offset:         116
        .size:           1
        .value_kind:     by_value
    .group_segment_fixed_size: 0
    .kernarg_segment_align: 8
    .kernarg_segment_size: 120
    .language:       OpenCL C
    .language_version:
      - 2
      - 0
    .max_flat_workgroup_size: 1024
    .name:           _ZN9rocsparseL22bsrxmvn_general_kernelILj1024ELj32E21rocsparse_complex_numIdEiiS2_S2_S2_EEv20rocsparse_direction_NS_24const_host_device_scalarIT1_EET3_PKS7_PKT2_SC_S9_PKT4_S7_PKT5_S6_PT6_21rocsparse_index_base_b
    .private_segment_fixed_size: 0
    .sgpr_count:     32
    .sgpr_spill_count: 0
    .symbol:         _ZN9rocsparseL22bsrxmvn_general_kernelILj1024ELj32E21rocsparse_complex_numIdEiiS2_S2_S2_EEv20rocsparse_direction_NS_24const_host_device_scalarIT1_EET3_PKS7_PKT2_SC_S9_PKT4_S7_PKT5_S6_PT6_21rocsparse_index_base_b.kd
    .uniform_work_group_size: 1
    .uses_dynamic_stack: false
    .vgpr_count:     40
    .vgpr_spill_count: 0
    .wavefront_size: 32
    .workgroup_processor_mode: 1
  - .args:
      - .offset:         0
        .size:           4
        .value_kind:     by_value
      - .offset:         8
        .size:           8
        .value_kind:     by_value
      - .offset:         16
        .size:           4
        .value_kind:     by_value
      - .actual_access:  read_only
        .address_space:  global
        .offset:         24
        .size:           8
        .value_kind:     global_buffer
      - .actual_access:  read_only
        .address_space:  global
        .offset:         32
        .size:           8
        .value_kind:     global_buffer
      - .actual_access:  read_only
        .address_space:  global
        .offset:         40
        .size:           8
        .value_kind:     global_buffer
      - .actual_access:  read_only
        .address_space:  global
        .offset:         48
        .size:           8
        .value_kind:     global_buffer
      - .actual_access:  read_only
        .address_space:  global
        .offset:         56
        .size:           8
        .value_kind:     global_buffer
      - .offset:         64
        .size:           4
        .value_kind:     by_value
      - .actual_access:  read_only
        .address_space:  global
        .offset:         72
        .size:           8
        .value_kind:     global_buffer
      - .offset:         80
        .size:           8
        .value_kind:     by_value
      - .address_space:  global
        .offset:         88
        .size:           8
        .value_kind:     global_buffer
      - .offset:         96
        .size:           4
        .value_kind:     by_value
      - .offset:         100
        .size:           1
        .value_kind:     by_value
    .group_segment_fixed_size: 0
    .kernarg_segment_align: 8
    .kernarg_segment_size: 104
    .language:       OpenCL C
    .language_version:
      - 2
      - 0
    .max_flat_workgroup_size: 64
    .name:           _ZN9rocsparseL22bsrxmvn_general_kernelILj64ELj8EflifffEEv20rocsparse_direction_NS_24const_host_device_scalarIT1_EET3_PKS5_PKT2_SA_S7_PKT4_S5_PKT5_S4_PT6_21rocsparse_index_base_b
    .private_segment_fixed_size: 0
    .sgpr_count:     38
    .sgpr_spill_count: 0
    .symbol:         _ZN9rocsparseL22bsrxmvn_general_kernelILj64ELj8EflifffEEv20rocsparse_direction_NS_24const_host_device_scalarIT1_EET3_PKS5_PKT2_SA_S7_PKT4_S5_PKT5_S4_PT6_21rocsparse_index_base_b.kd
    .uniform_work_group_size: 1
    .uses_dynamic_stack: false
    .vgpr_count:     21
    .vgpr_spill_count: 0
    .wavefront_size: 32
    .workgroup_processor_mode: 1
  - .args:
      - .offset:         0
        .size:           4
        .value_kind:     by_value
      - .offset:         8
        .size:           8
        .value_kind:     by_value
      - .offset:         16
        .size:           4
        .value_kind:     by_value
      - .actual_access:  read_only
        .address_space:  global
        .offset:         24
        .size:           8
        .value_kind:     global_buffer
      - .actual_access:  read_only
        .address_space:  global
        .offset:         32
        .size:           8
        .value_kind:     global_buffer
      - .actual_access:  read_only
        .address_space:  global
        .offset:         40
        .size:           8
        .value_kind:     global_buffer
      - .actual_access:  read_only
        .address_space:  global
        .offset:         48
        .size:           8
        .value_kind:     global_buffer
      - .actual_access:  read_only
        .address_space:  global
        .offset:         56
        .size:           8
        .value_kind:     global_buffer
      - .offset:         64
        .size:           4
        .value_kind:     by_value
      - .actual_access:  read_only
        .address_space:  global
        .offset:         72
        .size:           8
        .value_kind:     global_buffer
      - .offset:         80
        .size:           8
        .value_kind:     by_value
      - .address_space:  global
        .offset:         88
        .size:           8
        .value_kind:     global_buffer
      - .offset:         96
        .size:           4
        .value_kind:     by_value
      - .offset:         100
        .size:           1
        .value_kind:     by_value
    .group_segment_fixed_size: 0
    .kernarg_segment_align: 8
    .kernarg_segment_size: 104
    .language:       OpenCL C
    .language_version:
      - 2
      - 0
    .max_flat_workgroup_size: 256
    .name:           _ZN9rocsparseL22bsrxmvn_general_kernelILj256ELj16EflifffEEv20rocsparse_direction_NS_24const_host_device_scalarIT1_EET3_PKS5_PKT2_SA_S7_PKT4_S5_PKT5_S4_PT6_21rocsparse_index_base_b
    .private_segment_fixed_size: 0
    .sgpr_count:     38
    .sgpr_spill_count: 0
    .symbol:         _ZN9rocsparseL22bsrxmvn_general_kernelILj256ELj16EflifffEEv20rocsparse_direction_NS_24const_host_device_scalarIT1_EET3_PKS5_PKT2_SA_S7_PKT4_S5_PKT5_S4_PT6_21rocsparse_index_base_b.kd
    .uniform_work_group_size: 1
    .uses_dynamic_stack: false
    .vgpr_count:     22
    .vgpr_spill_count: 0
    .wavefront_size: 32
    .workgroup_processor_mode: 1
  - .args:
      - .offset:         0
        .size:           4
        .value_kind:     by_value
      - .offset:         8
        .size:           8
        .value_kind:     by_value
      - .offset:         16
        .size:           4
        .value_kind:     by_value
      - .actual_access:  read_only
        .address_space:  global
        .offset:         24
        .size:           8
        .value_kind:     global_buffer
      - .actual_access:  read_only
        .address_space:  global
        .offset:         32
        .size:           8
        .value_kind:     global_buffer
      - .actual_access:  read_only
        .address_space:  global
        .offset:         40
        .size:           8
        .value_kind:     global_buffer
      - .actual_access:  read_only
        .address_space:  global
        .offset:         48
        .size:           8
        .value_kind:     global_buffer
      - .actual_access:  read_only
        .address_space:  global
        .offset:         56
        .size:           8
        .value_kind:     global_buffer
      - .offset:         64
        .size:           4
        .value_kind:     by_value
      - .actual_access:  read_only
        .address_space:  global
        .offset:         72
        .size:           8
        .value_kind:     global_buffer
      - .offset:         80
        .size:           8
        .value_kind:     by_value
      - .address_space:  global
        .offset:         88
        .size:           8
        .value_kind:     global_buffer
      - .offset:         96
        .size:           4
        .value_kind:     by_value
      - .offset:         100
        .size:           1
        .value_kind:     by_value
    .group_segment_fixed_size: 0
    .kernarg_segment_align: 8
    .kernarg_segment_size: 104
    .language:       OpenCL C
    .language_version:
      - 2
      - 0
    .max_flat_workgroup_size: 1024
    .name:           _ZN9rocsparseL22bsrxmvn_general_kernelILj1024ELj32EflifffEEv20rocsparse_direction_NS_24const_host_device_scalarIT1_EET3_PKS5_PKT2_SA_S7_PKT4_S5_PKT5_S4_PT6_21rocsparse_index_base_b
    .private_segment_fixed_size: 0
    .sgpr_count:     38
    .sgpr_spill_count: 0
    .symbol:         _ZN9rocsparseL22bsrxmvn_general_kernelILj1024ELj32EflifffEEv20rocsparse_direction_NS_24const_host_device_scalarIT1_EET3_PKS5_PKT2_SA_S7_PKT4_S5_PKT5_S4_PT6_21rocsparse_index_base_b.kd
    .uniform_work_group_size: 1
    .uses_dynamic_stack: false
    .vgpr_count:     23
    .vgpr_spill_count: 0
    .wavefront_size: 32
    .workgroup_processor_mode: 1
  - .args:
      - .offset:         0
        .size:           4
        .value_kind:     by_value
      - .offset:         8
        .size:           8
        .value_kind:     by_value
      - .offset:         16
        .size:           4
        .value_kind:     by_value
      - .actual_access:  read_only
        .address_space:  global
        .offset:         24
        .size:           8
        .value_kind:     global_buffer
      - .actual_access:  read_only
        .address_space:  global
        .offset:         32
        .size:           8
        .value_kind:     global_buffer
      - .actual_access:  read_only
        .address_space:  global
        .offset:         40
        .size:           8
        .value_kind:     global_buffer
      - .actual_access:  read_only
        .address_space:  global
        .offset:         48
        .size:           8
        .value_kind:     global_buffer
      - .actual_access:  read_only
        .address_space:  global
        .offset:         56
        .size:           8
        .value_kind:     global_buffer
      - .offset:         64
        .size:           4
        .value_kind:     by_value
      - .actual_access:  read_only
        .address_space:  global
        .offset:         72
        .size:           8
        .value_kind:     global_buffer
      - .offset:         80
        .size:           8
        .value_kind:     by_value
      - .address_space:  global
        .offset:         88
        .size:           8
        .value_kind:     global_buffer
      - .offset:         96
        .size:           4
        .value_kind:     by_value
      - .offset:         100
        .size:           1
        .value_kind:     by_value
    .group_segment_fixed_size: 0
    .kernarg_segment_align: 8
    .kernarg_segment_size: 104
    .language:       OpenCL C
    .language_version:
      - 2
      - 0
    .max_flat_workgroup_size: 64
    .name:           _ZN9rocsparseL22bsrxmvn_general_kernelILj64ELj8EdlidddEEv20rocsparse_direction_NS_24const_host_device_scalarIT1_EET3_PKS5_PKT2_SA_S7_PKT4_S5_PKT5_S4_PT6_21rocsparse_index_base_b
    .private_segment_fixed_size: 0
    .sgpr_count:     34
    .sgpr_spill_count: 0
    .symbol:         _ZN9rocsparseL22bsrxmvn_general_kernelILj64ELj8EdlidddEEv20rocsparse_direction_NS_24const_host_device_scalarIT1_EET3_PKS5_PKT2_SA_S7_PKT4_S5_PKT5_S4_PT6_21rocsparse_index_base_b.kd
    .uniform_work_group_size: 1
    .uses_dynamic_stack: false
    .vgpr_count:     26
    .vgpr_spill_count: 0
    .wavefront_size: 32
    .workgroup_processor_mode: 1
  - .args:
      - .offset:         0
        .size:           4
        .value_kind:     by_value
      - .offset:         8
        .size:           8
        .value_kind:     by_value
      - .offset:         16
        .size:           4
        .value_kind:     by_value
      - .actual_access:  read_only
        .address_space:  global
        .offset:         24
        .size:           8
        .value_kind:     global_buffer
      - .actual_access:  read_only
        .address_space:  global
        .offset:         32
        .size:           8
        .value_kind:     global_buffer
      - .actual_access:  read_only
        .address_space:  global
        .offset:         40
        .size:           8
        .value_kind:     global_buffer
      - .actual_access:  read_only
        .address_space:  global
        .offset:         48
        .size:           8
        .value_kind:     global_buffer
      - .actual_access:  read_only
        .address_space:  global
        .offset:         56
        .size:           8
        .value_kind:     global_buffer
      - .offset:         64
        .size:           4
        .value_kind:     by_value
      - .actual_access:  read_only
        .address_space:  global
        .offset:         72
        .size:           8
        .value_kind:     global_buffer
      - .offset:         80
        .size:           8
        .value_kind:     by_value
      - .address_space:  global
        .offset:         88
        .size:           8
        .value_kind:     global_buffer
      - .offset:         96
        .size:           4
        .value_kind:     by_value
      - .offset:         100
        .size:           1
        .value_kind:     by_value
    .group_segment_fixed_size: 0
    .kernarg_segment_align: 8
    .kernarg_segment_size: 104
    .language:       OpenCL C
    .language_version:
      - 2
      - 0
    .max_flat_workgroup_size: 256
    .name:           _ZN9rocsparseL22bsrxmvn_general_kernelILj256ELj16EdlidddEEv20rocsparse_direction_NS_24const_host_device_scalarIT1_EET3_PKS5_PKT2_SA_S7_PKT4_S5_PKT5_S4_PT6_21rocsparse_index_base_b
    .private_segment_fixed_size: 0
    .sgpr_count:     34
    .sgpr_spill_count: 0
    .symbol:         _ZN9rocsparseL22bsrxmvn_general_kernelILj256ELj16EdlidddEEv20rocsparse_direction_NS_24const_host_device_scalarIT1_EET3_PKS5_PKT2_SA_S7_PKT4_S5_PKT5_S4_PT6_21rocsparse_index_base_b.kd
    .uniform_work_group_size: 1
    .uses_dynamic_stack: false
    .vgpr_count:     27
    .vgpr_spill_count: 0
    .wavefront_size: 32
    .workgroup_processor_mode: 1
  - .args:
      - .offset:         0
        .size:           4
        .value_kind:     by_value
      - .offset:         8
        .size:           8
        .value_kind:     by_value
      - .offset:         16
        .size:           4
        .value_kind:     by_value
      - .actual_access:  read_only
        .address_space:  global
        .offset:         24
        .size:           8
        .value_kind:     global_buffer
      - .actual_access:  read_only
        .address_space:  global
        .offset:         32
        .size:           8
        .value_kind:     global_buffer
      - .actual_access:  read_only
        .address_space:  global
        .offset:         40
        .size:           8
        .value_kind:     global_buffer
      - .actual_access:  read_only
        .address_space:  global
        .offset:         48
        .size:           8
        .value_kind:     global_buffer
      - .actual_access:  read_only
        .address_space:  global
        .offset:         56
        .size:           8
        .value_kind:     global_buffer
      - .offset:         64
        .size:           4
        .value_kind:     by_value
      - .actual_access:  read_only
        .address_space:  global
        .offset:         72
        .size:           8
        .value_kind:     global_buffer
      - .offset:         80
        .size:           8
        .value_kind:     by_value
      - .address_space:  global
        .offset:         88
        .size:           8
        .value_kind:     global_buffer
      - .offset:         96
        .size:           4
        .value_kind:     by_value
      - .offset:         100
        .size:           1
        .value_kind:     by_value
    .group_segment_fixed_size: 0
    .kernarg_segment_align: 8
    .kernarg_segment_size: 104
    .language:       OpenCL C
    .language_version:
      - 2
      - 0
    .max_flat_workgroup_size: 1024
    .name:           _ZN9rocsparseL22bsrxmvn_general_kernelILj1024ELj32EdlidddEEv20rocsparse_direction_NS_24const_host_device_scalarIT1_EET3_PKS5_PKT2_SA_S7_PKT4_S5_PKT5_S4_PT6_21rocsparse_index_base_b
    .private_segment_fixed_size: 0
    .sgpr_count:     34
    .sgpr_spill_count: 0
    .symbol:         _ZN9rocsparseL22bsrxmvn_general_kernelILj1024ELj32EdlidddEEv20rocsparse_direction_NS_24const_host_device_scalarIT1_EET3_PKS5_PKT2_SA_S7_PKT4_S5_PKT5_S4_PT6_21rocsparse_index_base_b.kd
    .uniform_work_group_size: 1
    .uses_dynamic_stack: false
    .vgpr_count:     28
    .vgpr_spill_count: 0
    .wavefront_size: 32
    .workgroup_processor_mode: 1
  - .args:
      - .offset:         0
        .size:           4
        .value_kind:     by_value
      - .offset:         8
        .size:           8
        .value_kind:     by_value
      - .offset:         16
        .size:           4
        .value_kind:     by_value
      - .actual_access:  read_only
        .address_space:  global
        .offset:         24
        .size:           8
        .value_kind:     global_buffer
      - .actual_access:  read_only
        .address_space:  global
        .offset:         32
        .size:           8
        .value_kind:     global_buffer
      - .actual_access:  read_only
        .address_space:  global
        .offset:         40
        .size:           8
        .value_kind:     global_buffer
      - .actual_access:  read_only
        .address_space:  global
        .offset:         48
        .size:           8
        .value_kind:     global_buffer
      - .actual_access:  read_only
        .address_space:  global
        .offset:         56
        .size:           8
        .value_kind:     global_buffer
      - .offset:         64
        .size:           4
        .value_kind:     by_value
      - .actual_access:  read_only
        .address_space:  global
        .offset:         72
        .size:           8
        .value_kind:     global_buffer
      - .offset:         80
        .size:           8
        .value_kind:     by_value
      - .address_space:  global
        .offset:         88
        .size:           8
        .value_kind:     global_buffer
      - .offset:         96
        .size:           4
        .value_kind:     by_value
      - .offset:         100
        .size:           1
        .value_kind:     by_value
    .group_segment_fixed_size: 0
    .kernarg_segment_align: 8
    .kernarg_segment_size: 104
    .language:       OpenCL C
    .language_version:
      - 2
      - 0
    .max_flat_workgroup_size: 64
    .name:           _ZN9rocsparseL22bsrxmvn_general_kernelILj64ELj8E21rocsparse_complex_numIfEliS2_S2_S2_EEv20rocsparse_direction_NS_24const_host_device_scalarIT1_EET3_PKS7_PKT2_SC_S9_PKT4_S7_PKT5_S6_PT6_21rocsparse_index_base_b
    .private_segment_fixed_size: 0
    .sgpr_count:     34
    .sgpr_spill_count: 0
    .symbol:         _ZN9rocsparseL22bsrxmvn_general_kernelILj64ELj8E21rocsparse_complex_numIfEliS2_S2_S2_EEv20rocsparse_direction_NS_24const_host_device_scalarIT1_EET3_PKS7_PKT2_SC_S9_PKT4_S7_PKT5_S6_PT6_21rocsparse_index_base_b.kd
    .uniform_work_group_size: 1
    .uses_dynamic_stack: false
    .vgpr_count:     26
    .vgpr_spill_count: 0
    .wavefront_size: 32
    .workgroup_processor_mode: 1
  - .args:
      - .offset:         0
        .size:           4
        .value_kind:     by_value
      - .offset:         8
        .size:           8
        .value_kind:     by_value
      - .offset:         16
        .size:           4
        .value_kind:     by_value
      - .actual_access:  read_only
        .address_space:  global
        .offset:         24
        .size:           8
        .value_kind:     global_buffer
      - .actual_access:  read_only
        .address_space:  global
        .offset:         32
        .size:           8
        .value_kind:     global_buffer
      - .actual_access:  read_only
        .address_space:  global
        .offset:         40
        .size:           8
        .value_kind:     global_buffer
      - .actual_access:  read_only
        .address_space:  global
        .offset:         48
        .size:           8
        .value_kind:     global_buffer
      - .actual_access:  read_only
        .address_space:  global
        .offset:         56
        .size:           8
        .value_kind:     global_buffer
      - .offset:         64
        .size:           4
        .value_kind:     by_value
      - .actual_access:  read_only
        .address_space:  global
        .offset:         72
        .size:           8
        .value_kind:     global_buffer
      - .offset:         80
        .size:           8
        .value_kind:     by_value
      - .address_space:  global
        .offset:         88
        .size:           8
        .value_kind:     global_buffer
      - .offset:         96
        .size:           4
        .value_kind:     by_value
      - .offset:         100
        .size:           1
        .value_kind:     by_value
    .group_segment_fixed_size: 0
    .kernarg_segment_align: 8
    .kernarg_segment_size: 104
    .language:       OpenCL C
    .language_version:
      - 2
      - 0
    .max_flat_workgroup_size: 256
    .name:           _ZN9rocsparseL22bsrxmvn_general_kernelILj256ELj16E21rocsparse_complex_numIfEliS2_S2_S2_EEv20rocsparse_direction_NS_24const_host_device_scalarIT1_EET3_PKS7_PKT2_SC_S9_PKT4_S7_PKT5_S6_PT6_21rocsparse_index_base_b
    .private_segment_fixed_size: 0
    .sgpr_count:     34
    .sgpr_spill_count: 0
    .symbol:         _ZN9rocsparseL22bsrxmvn_general_kernelILj256ELj16E21rocsparse_complex_numIfEliS2_S2_S2_EEv20rocsparse_direction_NS_24const_host_device_scalarIT1_EET3_PKS7_PKT2_SC_S9_PKT4_S7_PKT5_S6_PT6_21rocsparse_index_base_b.kd
    .uniform_work_group_size: 1
    .uses_dynamic_stack: false
    .vgpr_count:     27
    .vgpr_spill_count: 0
    .wavefront_size: 32
    .workgroup_processor_mode: 1
  - .args:
      - .offset:         0
        .size:           4
        .value_kind:     by_value
      - .offset:         8
        .size:           8
        .value_kind:     by_value
      - .offset:         16
        .size:           4
        .value_kind:     by_value
      - .actual_access:  read_only
        .address_space:  global
        .offset:         24
        .size:           8
        .value_kind:     global_buffer
      - .actual_access:  read_only
        .address_space:  global
        .offset:         32
        .size:           8
        .value_kind:     global_buffer
      - .actual_access:  read_only
        .address_space:  global
        .offset:         40
        .size:           8
        .value_kind:     global_buffer
      - .actual_access:  read_only
        .address_space:  global
        .offset:         48
        .size:           8
        .value_kind:     global_buffer
      - .actual_access:  read_only
        .address_space:  global
        .offset:         56
        .size:           8
        .value_kind:     global_buffer
      - .offset:         64
        .size:           4
        .value_kind:     by_value
      - .actual_access:  read_only
        .address_space:  global
        .offset:         72
        .size:           8
        .value_kind:     global_buffer
      - .offset:         80
        .size:           8
        .value_kind:     by_value
      - .address_space:  global
        .offset:         88
        .size:           8
        .value_kind:     global_buffer
      - .offset:         96
        .size:           4
        .value_kind:     by_value
      - .offset:         100
        .size:           1
        .value_kind:     by_value
    .group_segment_fixed_size: 0
    .kernarg_segment_align: 8
    .kernarg_segment_size: 104
    .language:       OpenCL C
    .language_version:
      - 2
      - 0
    .max_flat_workgroup_size: 1024
    .name:           _ZN9rocsparseL22bsrxmvn_general_kernelILj1024ELj32E21rocsparse_complex_numIfEliS2_S2_S2_EEv20rocsparse_direction_NS_24const_host_device_scalarIT1_EET3_PKS7_PKT2_SC_S9_PKT4_S7_PKT5_S6_PT6_21rocsparse_index_base_b
    .private_segment_fixed_size: 0
    .sgpr_count:     34
    .sgpr_spill_count: 0
    .symbol:         _ZN9rocsparseL22bsrxmvn_general_kernelILj1024ELj32E21rocsparse_complex_numIfEliS2_S2_S2_EEv20rocsparse_direction_NS_24const_host_device_scalarIT1_EET3_PKS7_PKT2_SC_S9_PKT4_S7_PKT5_S6_PT6_21rocsparse_index_base_b.kd
    .uniform_work_group_size: 1
    .uses_dynamic_stack: false
    .vgpr_count:     28
    .vgpr_spill_count: 0
    .wavefront_size: 32
    .workgroup_processor_mode: 1
  - .args:
      - .offset:         0
        .size:           4
        .value_kind:     by_value
      - .offset:         8
        .size:           16
        .value_kind:     by_value
      - .offset:         24
        .size:           4
        .value_kind:     by_value
      - .actual_access:  read_only
        .address_space:  global
        .offset:         32
        .size:           8
        .value_kind:     global_buffer
      - .actual_access:  read_only
        .address_space:  global
        .offset:         40
        .size:           8
        .value_kind:     global_buffer
      - .actual_access:  read_only
        .address_space:  global
        .offset:         48
        .size:           8
        .value_kind:     global_buffer
      - .actual_access:  read_only
        .address_space:  global
        .offset:         56
        .size:           8
        .value_kind:     global_buffer
      - .actual_access:  read_only
        .address_space:  global
        .offset:         64
        .size:           8
        .value_kind:     global_buffer
      - .offset:         72
        .size:           4
        .value_kind:     by_value
      - .actual_access:  read_only
        .address_space:  global
        .offset:         80
        .size:           8
        .value_kind:     global_buffer
      - .offset:         88
        .size:           16
        .value_kind:     by_value
      - .address_space:  global
        .offset:         104
        .size:           8
        .value_kind:     global_buffer
      - .offset:         112
        .size:           4
        .value_kind:     by_value
      - .offset:         116
        .size:           1
        .value_kind:     by_value
    .group_segment_fixed_size: 0
    .kernarg_segment_align: 8
    .kernarg_segment_size: 120
    .language:       OpenCL C
    .language_version:
      - 2
      - 0
    .max_flat_workgroup_size: 64
    .name:           _ZN9rocsparseL22bsrxmvn_general_kernelILj64ELj8E21rocsparse_complex_numIdEliS2_S2_S2_EEv20rocsparse_direction_NS_24const_host_device_scalarIT1_EET3_PKS7_PKT2_SC_S9_PKT4_S7_PKT5_S6_PT6_21rocsparse_index_base_b
    .private_segment_fixed_size: 0
    .sgpr_count:     34
    .sgpr_spill_count: 0
    .symbol:         _ZN9rocsparseL22bsrxmvn_general_kernelILj64ELj8E21rocsparse_complex_numIdEliS2_S2_S2_EEv20rocsparse_direction_NS_24const_host_device_scalarIT1_EET3_PKS7_PKT2_SC_S9_PKT4_S7_PKT5_S6_PT6_21rocsparse_index_base_b.kd
    .uniform_work_group_size: 1
    .uses_dynamic_stack: false
    .vgpr_count:     38
    .vgpr_spill_count: 0
    .wavefront_size: 32
    .workgroup_processor_mode: 1
  - .args:
      - .offset:         0
        .size:           4
        .value_kind:     by_value
      - .offset:         8
        .size:           16
        .value_kind:     by_value
      - .offset:         24
        .size:           4
        .value_kind:     by_value
      - .actual_access:  read_only
        .address_space:  global
        .offset:         32
        .size:           8
        .value_kind:     global_buffer
      - .actual_access:  read_only
        .address_space:  global
        .offset:         40
        .size:           8
        .value_kind:     global_buffer
      - .actual_access:  read_only
        .address_space:  global
        .offset:         48
        .size:           8
        .value_kind:     global_buffer
      - .actual_access:  read_only
        .address_space:  global
        .offset:         56
        .size:           8
        .value_kind:     global_buffer
      - .actual_access:  read_only
        .address_space:  global
        .offset:         64
        .size:           8
        .value_kind:     global_buffer
      - .offset:         72
        .size:           4
        .value_kind:     by_value
      - .actual_access:  read_only
        .address_space:  global
        .offset:         80
        .size:           8
        .value_kind:     global_buffer
      - .offset:         88
        .size:           16
        .value_kind:     by_value
      - .address_space:  global
        .offset:         104
        .size:           8
        .value_kind:     global_buffer
      - .offset:         112
        .size:           4
        .value_kind:     by_value
      - .offset:         116
        .size:           1
        .value_kind:     by_value
    .group_segment_fixed_size: 0
    .kernarg_segment_align: 8
    .kernarg_segment_size: 120
    .language:       OpenCL C
    .language_version:
      - 2
      - 0
    .max_flat_workgroup_size: 256
    .name:           _ZN9rocsparseL22bsrxmvn_general_kernelILj256ELj16E21rocsparse_complex_numIdEliS2_S2_S2_EEv20rocsparse_direction_NS_24const_host_device_scalarIT1_EET3_PKS7_PKT2_SC_S9_PKT4_S7_PKT5_S6_PT6_21rocsparse_index_base_b
    .private_segment_fixed_size: 0
    .sgpr_count:     34
    .sgpr_spill_count: 0
    .symbol:         _ZN9rocsparseL22bsrxmvn_general_kernelILj256ELj16E21rocsparse_complex_numIdEliS2_S2_S2_EEv20rocsparse_direction_NS_24const_host_device_scalarIT1_EET3_PKS7_PKT2_SC_S9_PKT4_S7_PKT5_S6_PT6_21rocsparse_index_base_b.kd
    .uniform_work_group_size: 1
    .uses_dynamic_stack: false
    .vgpr_count:     39
    .vgpr_spill_count: 0
    .wavefront_size: 32
    .workgroup_processor_mode: 1
  - .args:
      - .offset:         0
        .size:           4
        .value_kind:     by_value
      - .offset:         8
        .size:           16
        .value_kind:     by_value
      - .offset:         24
        .size:           4
        .value_kind:     by_value
      - .actual_access:  read_only
        .address_space:  global
        .offset:         32
        .size:           8
        .value_kind:     global_buffer
      - .actual_access:  read_only
        .address_space:  global
        .offset:         40
        .size:           8
        .value_kind:     global_buffer
      - .actual_access:  read_only
        .address_space:  global
        .offset:         48
        .size:           8
        .value_kind:     global_buffer
      - .actual_access:  read_only
        .address_space:  global
        .offset:         56
        .size:           8
        .value_kind:     global_buffer
      - .actual_access:  read_only
        .address_space:  global
        .offset:         64
        .size:           8
        .value_kind:     global_buffer
      - .offset:         72
        .size:           4
        .value_kind:     by_value
      - .actual_access:  read_only
        .address_space:  global
        .offset:         80
        .size:           8
        .value_kind:     global_buffer
      - .offset:         88
        .size:           16
        .value_kind:     by_value
      - .address_space:  global
        .offset:         104
        .size:           8
        .value_kind:     global_buffer
      - .offset:         112
        .size:           4
        .value_kind:     by_value
      - .offset:         116
        .size:           1
        .value_kind:     by_value
    .group_segment_fixed_size: 0
    .kernarg_segment_align: 8
    .kernarg_segment_size: 120
    .language:       OpenCL C
    .language_version:
      - 2
      - 0
    .max_flat_workgroup_size: 1024
    .name:           _ZN9rocsparseL22bsrxmvn_general_kernelILj1024ELj32E21rocsparse_complex_numIdEliS2_S2_S2_EEv20rocsparse_direction_NS_24const_host_device_scalarIT1_EET3_PKS7_PKT2_SC_S9_PKT4_S7_PKT5_S6_PT6_21rocsparse_index_base_b
    .private_segment_fixed_size: 0
    .sgpr_count:     34
    .sgpr_spill_count: 0
    .symbol:         _ZN9rocsparseL22bsrxmvn_general_kernelILj1024ELj32E21rocsparse_complex_numIdEliS2_S2_S2_EEv20rocsparse_direction_NS_24const_host_device_scalarIT1_EET3_PKS7_PKT2_SC_S9_PKT4_S7_PKT5_S6_PT6_21rocsparse_index_base_b.kd
    .uniform_work_group_size: 1
    .uses_dynamic_stack: false
    .vgpr_count:     40
    .vgpr_spill_count: 0
    .wavefront_size: 32
    .workgroup_processor_mode: 1
  - .args:
      - .offset:         0
        .size:           4
        .value_kind:     by_value
      - .offset:         8
        .size:           8
        .value_kind:     by_value
      - .offset:         16
        .size:           8
        .value_kind:     by_value
      - .actual_access:  read_only
        .address_space:  global
        .offset:         24
        .size:           8
        .value_kind:     global_buffer
      - .actual_access:  read_only
        .address_space:  global
        .offset:         32
        .size:           8
        .value_kind:     global_buffer
      - .actual_access:  read_only
        .address_space:  global
        .offset:         40
        .size:           8
        .value_kind:     global_buffer
      - .actual_access:  read_only
        .address_space:  global
        .offset:         48
        .size:           8
        .value_kind:     global_buffer
      - .actual_access:  read_only
        .address_space:  global
        .offset:         56
        .size:           8
        .value_kind:     global_buffer
      - .offset:         64
        .size:           8
        .value_kind:     by_value
      - .actual_access:  read_only
        .address_space:  global
        .offset:         72
        .size:           8
        .value_kind:     global_buffer
      - .offset:         80
        .size:           8
        .value_kind:     by_value
      - .address_space:  global
        .offset:         88
        .size:           8
        .value_kind:     global_buffer
      - .offset:         96
        .size:           4
        .value_kind:     by_value
      - .offset:         100
        .size:           1
        .value_kind:     by_value
    .group_segment_fixed_size: 0
    .kernarg_segment_align: 8
    .kernarg_segment_size: 104
    .language:       OpenCL C
    .language_version:
      - 2
      - 0
    .max_flat_workgroup_size: 64
    .name:           _ZN9rocsparseL22bsrxmvn_general_kernelILj64ELj8EfllfffEEv20rocsparse_direction_NS_24const_host_device_scalarIT1_EET3_PKS5_PKT2_SA_S7_PKT4_S5_PKT5_S4_PT6_21rocsparse_index_base_b
    .private_segment_fixed_size: 0
    .sgpr_count:     39
    .sgpr_spill_count: 0
    .symbol:         _ZN9rocsparseL22bsrxmvn_general_kernelILj64ELj8EfllfffEEv20rocsparse_direction_NS_24const_host_device_scalarIT1_EET3_PKS5_PKT2_SA_S7_PKT4_S5_PKT5_S4_PT6_21rocsparse_index_base_b.kd
    .uniform_work_group_size: 1
    .uses_dynamic_stack: false
    .vgpr_count:     22
    .vgpr_spill_count: 0
    .wavefront_size: 32
    .workgroup_processor_mode: 1
  - .args:
      - .offset:         0
        .size:           4
        .value_kind:     by_value
      - .offset:         8
        .size:           8
        .value_kind:     by_value
      - .offset:         16
        .size:           8
        .value_kind:     by_value
      - .actual_access:  read_only
        .address_space:  global
        .offset:         24
        .size:           8
        .value_kind:     global_buffer
      - .actual_access:  read_only
        .address_space:  global
        .offset:         32
        .size:           8
        .value_kind:     global_buffer
      - .actual_access:  read_only
        .address_space:  global
        .offset:         40
        .size:           8
        .value_kind:     global_buffer
      - .actual_access:  read_only
        .address_space:  global
        .offset:         48
        .size:           8
        .value_kind:     global_buffer
      - .actual_access:  read_only
        .address_space:  global
        .offset:         56
        .size:           8
        .value_kind:     global_buffer
      - .offset:         64
        .size:           8
        .value_kind:     by_value
      - .actual_access:  read_only
        .address_space:  global
        .offset:         72
        .size:           8
        .value_kind:     global_buffer
      - .offset:         80
        .size:           8
        .value_kind:     by_value
      - .address_space:  global
        .offset:         88
        .size:           8
        .value_kind:     global_buffer
      - .offset:         96
        .size:           4
        .value_kind:     by_value
      - .offset:         100
        .size:           1
        .value_kind:     by_value
    .group_segment_fixed_size: 0
    .kernarg_segment_align: 8
    .kernarg_segment_size: 104
    .language:       OpenCL C
    .language_version:
      - 2
      - 0
    .max_flat_workgroup_size: 256
    .name:           _ZN9rocsparseL22bsrxmvn_general_kernelILj256ELj16EfllfffEEv20rocsparse_direction_NS_24const_host_device_scalarIT1_EET3_PKS5_PKT2_SA_S7_PKT4_S5_PKT5_S4_PT6_21rocsparse_index_base_b
    .private_segment_fixed_size: 0
    .sgpr_count:     39
    .sgpr_spill_count: 0
    .symbol:         _ZN9rocsparseL22bsrxmvn_general_kernelILj256ELj16EfllfffEEv20rocsparse_direction_NS_24const_host_device_scalarIT1_EET3_PKS5_PKT2_SA_S7_PKT4_S5_PKT5_S4_PT6_21rocsparse_index_base_b.kd
    .uniform_work_group_size: 1
    .uses_dynamic_stack: false
    .vgpr_count:     23
    .vgpr_spill_count: 0
    .wavefront_size: 32
    .workgroup_processor_mode: 1
  - .args:
      - .offset:         0
        .size:           4
        .value_kind:     by_value
      - .offset:         8
        .size:           8
        .value_kind:     by_value
      - .offset:         16
        .size:           8
        .value_kind:     by_value
      - .actual_access:  read_only
        .address_space:  global
        .offset:         24
        .size:           8
        .value_kind:     global_buffer
      - .actual_access:  read_only
        .address_space:  global
        .offset:         32
        .size:           8
        .value_kind:     global_buffer
      - .actual_access:  read_only
        .address_space:  global
        .offset:         40
        .size:           8
        .value_kind:     global_buffer
      - .actual_access:  read_only
        .address_space:  global
        .offset:         48
        .size:           8
        .value_kind:     global_buffer
      - .actual_access:  read_only
        .address_space:  global
        .offset:         56
        .size:           8
        .value_kind:     global_buffer
      - .offset:         64
        .size:           8
        .value_kind:     by_value
      - .actual_access:  read_only
        .address_space:  global
        .offset:         72
        .size:           8
        .value_kind:     global_buffer
      - .offset:         80
        .size:           8
        .value_kind:     by_value
      - .address_space:  global
        .offset:         88
        .size:           8
        .value_kind:     global_buffer
      - .offset:         96
        .size:           4
        .value_kind:     by_value
      - .offset:         100
        .size:           1
        .value_kind:     by_value
    .group_segment_fixed_size: 0
    .kernarg_segment_align: 8
    .kernarg_segment_size: 104
    .language:       OpenCL C
    .language_version:
      - 2
      - 0
    .max_flat_workgroup_size: 1024
    .name:           _ZN9rocsparseL22bsrxmvn_general_kernelILj1024ELj32EfllfffEEv20rocsparse_direction_NS_24const_host_device_scalarIT1_EET3_PKS5_PKT2_SA_S7_PKT4_S5_PKT5_S4_PT6_21rocsparse_index_base_b
    .private_segment_fixed_size: 0
    .sgpr_count:     39
    .sgpr_spill_count: 0
    .symbol:         _ZN9rocsparseL22bsrxmvn_general_kernelILj1024ELj32EfllfffEEv20rocsparse_direction_NS_24const_host_device_scalarIT1_EET3_PKS5_PKT2_SA_S7_PKT4_S5_PKT5_S4_PT6_21rocsparse_index_base_b.kd
    .uniform_work_group_size: 1
    .uses_dynamic_stack: false
    .vgpr_count:     24
    .vgpr_spill_count: 0
    .wavefront_size: 32
    .workgroup_processor_mode: 1
  - .args:
      - .offset:         0
        .size:           4
        .value_kind:     by_value
      - .offset:         8
        .size:           8
        .value_kind:     by_value
      - .offset:         16
        .size:           8
        .value_kind:     by_value
      - .actual_access:  read_only
        .address_space:  global
        .offset:         24
        .size:           8
        .value_kind:     global_buffer
      - .actual_access:  read_only
        .address_space:  global
        .offset:         32
        .size:           8
        .value_kind:     global_buffer
      - .actual_access:  read_only
        .address_space:  global
        .offset:         40
        .size:           8
        .value_kind:     global_buffer
      - .actual_access:  read_only
        .address_space:  global
        .offset:         48
        .size:           8
        .value_kind:     global_buffer
      - .actual_access:  read_only
        .address_space:  global
        .offset:         56
        .size:           8
        .value_kind:     global_buffer
      - .offset:         64
        .size:           8
        .value_kind:     by_value
      - .actual_access:  read_only
        .address_space:  global
        .offset:         72
        .size:           8
        .value_kind:     global_buffer
      - .offset:         80
        .size:           8
        .value_kind:     by_value
      - .address_space:  global
        .offset:         88
        .size:           8
        .value_kind:     global_buffer
      - .offset:         96
        .size:           4
        .value_kind:     by_value
      - .offset:         100
        .size:           1
        .value_kind:     by_value
    .group_segment_fixed_size: 0
    .kernarg_segment_align: 8
    .kernarg_segment_size: 104
    .language:       OpenCL C
    .language_version:
      - 2
      - 0
    .max_flat_workgroup_size: 64
    .name:           _ZN9rocsparseL22bsrxmvn_general_kernelILj64ELj8EdlldddEEv20rocsparse_direction_NS_24const_host_device_scalarIT1_EET3_PKS5_PKT2_SA_S7_PKT4_S5_PKT5_S4_PT6_21rocsparse_index_base_b
    .private_segment_fixed_size: 0
    .sgpr_count:     36
    .sgpr_spill_count: 0
    .symbol:         _ZN9rocsparseL22bsrxmvn_general_kernelILj64ELj8EdlldddEEv20rocsparse_direction_NS_24const_host_device_scalarIT1_EET3_PKS5_PKT2_SA_S7_PKT4_S5_PKT5_S4_PT6_21rocsparse_index_base_b.kd
    .uniform_work_group_size: 1
    .uses_dynamic_stack: false
    .vgpr_count:     27
    .vgpr_spill_count: 0
    .wavefront_size: 32
    .workgroup_processor_mode: 1
  - .args:
      - .offset:         0
        .size:           4
        .value_kind:     by_value
      - .offset:         8
        .size:           8
        .value_kind:     by_value
      - .offset:         16
        .size:           8
        .value_kind:     by_value
      - .actual_access:  read_only
        .address_space:  global
        .offset:         24
        .size:           8
        .value_kind:     global_buffer
      - .actual_access:  read_only
        .address_space:  global
        .offset:         32
        .size:           8
        .value_kind:     global_buffer
      - .actual_access:  read_only
        .address_space:  global
        .offset:         40
        .size:           8
        .value_kind:     global_buffer
      - .actual_access:  read_only
        .address_space:  global
        .offset:         48
        .size:           8
        .value_kind:     global_buffer
      - .actual_access:  read_only
        .address_space:  global
        .offset:         56
        .size:           8
        .value_kind:     global_buffer
      - .offset:         64
        .size:           8
        .value_kind:     by_value
      - .actual_access:  read_only
        .address_space:  global
        .offset:         72
        .size:           8
        .value_kind:     global_buffer
      - .offset:         80
        .size:           8
        .value_kind:     by_value
      - .address_space:  global
        .offset:         88
        .size:           8
        .value_kind:     global_buffer
      - .offset:         96
        .size:           4
        .value_kind:     by_value
      - .offset:         100
        .size:           1
        .value_kind:     by_value
    .group_segment_fixed_size: 0
    .kernarg_segment_align: 8
    .kernarg_segment_size: 104
    .language:       OpenCL C
    .language_version:
      - 2
      - 0
    .max_flat_workgroup_size: 256
    .name:           _ZN9rocsparseL22bsrxmvn_general_kernelILj256ELj16EdlldddEEv20rocsparse_direction_NS_24const_host_device_scalarIT1_EET3_PKS5_PKT2_SA_S7_PKT4_S5_PKT5_S4_PT6_21rocsparse_index_base_b
    .private_segment_fixed_size: 0
    .sgpr_count:     36
    .sgpr_spill_count: 0
    .symbol:         _ZN9rocsparseL22bsrxmvn_general_kernelILj256ELj16EdlldddEEv20rocsparse_direction_NS_24const_host_device_scalarIT1_EET3_PKS5_PKT2_SA_S7_PKT4_S5_PKT5_S4_PT6_21rocsparse_index_base_b.kd
    .uniform_work_group_size: 1
    .uses_dynamic_stack: false
    .vgpr_count:     28
    .vgpr_spill_count: 0
    .wavefront_size: 32
    .workgroup_processor_mode: 1
  - .args:
      - .offset:         0
        .size:           4
        .value_kind:     by_value
      - .offset:         8
        .size:           8
        .value_kind:     by_value
      - .offset:         16
        .size:           8
        .value_kind:     by_value
      - .actual_access:  read_only
        .address_space:  global
        .offset:         24
        .size:           8
        .value_kind:     global_buffer
      - .actual_access:  read_only
        .address_space:  global
        .offset:         32
        .size:           8
        .value_kind:     global_buffer
      - .actual_access:  read_only
        .address_space:  global
        .offset:         40
        .size:           8
        .value_kind:     global_buffer
      - .actual_access:  read_only
        .address_space:  global
        .offset:         48
        .size:           8
        .value_kind:     global_buffer
      - .actual_access:  read_only
        .address_space:  global
        .offset:         56
        .size:           8
        .value_kind:     global_buffer
      - .offset:         64
        .size:           8
        .value_kind:     by_value
      - .actual_access:  read_only
        .address_space:  global
        .offset:         72
        .size:           8
        .value_kind:     global_buffer
      - .offset:         80
        .size:           8
        .value_kind:     by_value
      - .address_space:  global
        .offset:         88
        .size:           8
        .value_kind:     global_buffer
      - .offset:         96
        .size:           4
        .value_kind:     by_value
      - .offset:         100
        .size:           1
        .value_kind:     by_value
    .group_segment_fixed_size: 0
    .kernarg_segment_align: 8
    .kernarg_segment_size: 104
    .language:       OpenCL C
    .language_version:
      - 2
      - 0
    .max_flat_workgroup_size: 1024
    .name:           _ZN9rocsparseL22bsrxmvn_general_kernelILj1024ELj32EdlldddEEv20rocsparse_direction_NS_24const_host_device_scalarIT1_EET3_PKS5_PKT2_SA_S7_PKT4_S5_PKT5_S4_PT6_21rocsparse_index_base_b
    .private_segment_fixed_size: 0
    .sgpr_count:     37
    .sgpr_spill_count: 0
    .symbol:         _ZN9rocsparseL22bsrxmvn_general_kernelILj1024ELj32EdlldddEEv20rocsparse_direction_NS_24const_host_device_scalarIT1_EET3_PKS5_PKT2_SA_S7_PKT4_S5_PKT5_S4_PT6_21rocsparse_index_base_b.kd
    .uniform_work_group_size: 1
    .uses_dynamic_stack: false
    .vgpr_count:     29
    .vgpr_spill_count: 0
    .wavefront_size: 32
    .workgroup_processor_mode: 1
  - .args:
      - .offset:         0
        .size:           4
        .value_kind:     by_value
      - .offset:         8
        .size:           8
        .value_kind:     by_value
      - .offset:         16
        .size:           8
        .value_kind:     by_value
      - .actual_access:  read_only
        .address_space:  global
        .offset:         24
        .size:           8
        .value_kind:     global_buffer
      - .actual_access:  read_only
        .address_space:  global
        .offset:         32
        .size:           8
        .value_kind:     global_buffer
      - .actual_access:  read_only
        .address_space:  global
        .offset:         40
        .size:           8
        .value_kind:     global_buffer
      - .actual_access:  read_only
        .address_space:  global
        .offset:         48
        .size:           8
        .value_kind:     global_buffer
      - .actual_access:  read_only
        .address_space:  global
        .offset:         56
        .size:           8
        .value_kind:     global_buffer
      - .offset:         64
        .size:           8
        .value_kind:     by_value
      - .actual_access:  read_only
        .address_space:  global
        .offset:         72
        .size:           8
        .value_kind:     global_buffer
      - .offset:         80
        .size:           8
        .value_kind:     by_value
      - .address_space:  global
        .offset:         88
        .size:           8
        .value_kind:     global_buffer
      - .offset:         96
        .size:           4
        .value_kind:     by_value
      - .offset:         100
        .size:           1
        .value_kind:     by_value
    .group_segment_fixed_size: 0
    .kernarg_segment_align: 8
    .kernarg_segment_size: 104
    .language:       OpenCL C
    .language_version:
      - 2
      - 0
    .max_flat_workgroup_size: 64
    .name:           _ZN9rocsparseL22bsrxmvn_general_kernelILj64ELj8E21rocsparse_complex_numIfEllS2_S2_S2_EEv20rocsparse_direction_NS_24const_host_device_scalarIT1_EET3_PKS7_PKT2_SC_S9_PKT4_S7_PKT5_S6_PT6_21rocsparse_index_base_b
    .private_segment_fixed_size: 0
    .sgpr_count:     38
    .sgpr_spill_count: 0
    .symbol:         _ZN9rocsparseL22bsrxmvn_general_kernelILj64ELj8E21rocsparse_complex_numIfEllS2_S2_S2_EEv20rocsparse_direction_NS_24const_host_device_scalarIT1_EET3_PKS7_PKT2_SC_S9_PKT4_S7_PKT5_S6_PT6_21rocsparse_index_base_b.kd
    .uniform_work_group_size: 1
    .uses_dynamic_stack: false
    .vgpr_count:     27
    .vgpr_spill_count: 0
    .wavefront_size: 32
    .workgroup_processor_mode: 1
  - .args:
      - .offset:         0
        .size:           4
        .value_kind:     by_value
      - .offset:         8
        .size:           8
        .value_kind:     by_value
      - .offset:         16
        .size:           8
        .value_kind:     by_value
      - .actual_access:  read_only
        .address_space:  global
        .offset:         24
        .size:           8
        .value_kind:     global_buffer
      - .actual_access:  read_only
        .address_space:  global
        .offset:         32
        .size:           8
        .value_kind:     global_buffer
      - .actual_access:  read_only
        .address_space:  global
        .offset:         40
        .size:           8
        .value_kind:     global_buffer
      - .actual_access:  read_only
        .address_space:  global
        .offset:         48
        .size:           8
        .value_kind:     global_buffer
      - .actual_access:  read_only
        .address_space:  global
        .offset:         56
        .size:           8
        .value_kind:     global_buffer
      - .offset:         64
        .size:           8
        .value_kind:     by_value
      - .actual_access:  read_only
        .address_space:  global
        .offset:         72
        .size:           8
        .value_kind:     global_buffer
      - .offset:         80
        .size:           8
        .value_kind:     by_value
      - .address_space:  global
        .offset:         88
        .size:           8
        .value_kind:     global_buffer
      - .offset:         96
        .size:           4
        .value_kind:     by_value
      - .offset:         100
        .size:           1
        .value_kind:     by_value
    .group_segment_fixed_size: 0
    .kernarg_segment_align: 8
    .kernarg_segment_size: 104
    .language:       OpenCL C
    .language_version:
      - 2
      - 0
    .max_flat_workgroup_size: 256
    .name:           _ZN9rocsparseL22bsrxmvn_general_kernelILj256ELj16E21rocsparse_complex_numIfEllS2_S2_S2_EEv20rocsparse_direction_NS_24const_host_device_scalarIT1_EET3_PKS7_PKT2_SC_S9_PKT4_S7_PKT5_S6_PT6_21rocsparse_index_base_b
    .private_segment_fixed_size: 0
    .sgpr_count:     38
    .sgpr_spill_count: 0
    .symbol:         _ZN9rocsparseL22bsrxmvn_general_kernelILj256ELj16E21rocsparse_complex_numIfEllS2_S2_S2_EEv20rocsparse_direction_NS_24const_host_device_scalarIT1_EET3_PKS7_PKT2_SC_S9_PKT4_S7_PKT5_S6_PT6_21rocsparse_index_base_b.kd
    .uniform_work_group_size: 1
    .uses_dynamic_stack: false
    .vgpr_count:     28
    .vgpr_spill_count: 0
    .wavefront_size: 32
    .workgroup_processor_mode: 1
  - .args:
      - .offset:         0
        .size:           4
        .value_kind:     by_value
      - .offset:         8
        .size:           8
        .value_kind:     by_value
      - .offset:         16
        .size:           8
        .value_kind:     by_value
      - .actual_access:  read_only
        .address_space:  global
        .offset:         24
        .size:           8
        .value_kind:     global_buffer
      - .actual_access:  read_only
        .address_space:  global
        .offset:         32
        .size:           8
        .value_kind:     global_buffer
      - .actual_access:  read_only
        .address_space:  global
        .offset:         40
        .size:           8
        .value_kind:     global_buffer
      - .actual_access:  read_only
        .address_space:  global
        .offset:         48
        .size:           8
        .value_kind:     global_buffer
      - .actual_access:  read_only
        .address_space:  global
        .offset:         56
        .size:           8
        .value_kind:     global_buffer
      - .offset:         64
        .size:           8
        .value_kind:     by_value
      - .actual_access:  read_only
        .address_space:  global
        .offset:         72
        .size:           8
        .value_kind:     global_buffer
      - .offset:         80
        .size:           8
        .value_kind:     by_value
      - .address_space:  global
        .offset:         88
        .size:           8
        .value_kind:     global_buffer
      - .offset:         96
        .size:           4
        .value_kind:     by_value
      - .offset:         100
        .size:           1
        .value_kind:     by_value
    .group_segment_fixed_size: 0
    .kernarg_segment_align: 8
    .kernarg_segment_size: 104
    .language:       OpenCL C
    .language_version:
      - 2
      - 0
    .max_flat_workgroup_size: 1024
    .name:           _ZN9rocsparseL22bsrxmvn_general_kernelILj1024ELj32E21rocsparse_complex_numIfEllS2_S2_S2_EEv20rocsparse_direction_NS_24const_host_device_scalarIT1_EET3_PKS7_PKT2_SC_S9_PKT4_S7_PKT5_S6_PT6_21rocsparse_index_base_b
    .private_segment_fixed_size: 0
    .sgpr_count:     38
    .sgpr_spill_count: 0
    .symbol:         _ZN9rocsparseL22bsrxmvn_general_kernelILj1024ELj32E21rocsparse_complex_numIfEllS2_S2_S2_EEv20rocsparse_direction_NS_24const_host_device_scalarIT1_EET3_PKS7_PKT2_SC_S9_PKT4_S7_PKT5_S6_PT6_21rocsparse_index_base_b.kd
    .uniform_work_group_size: 1
    .uses_dynamic_stack: false
    .vgpr_count:     29
    .vgpr_spill_count: 0
    .wavefront_size: 32
    .workgroup_processor_mode: 1
  - .args:
      - .offset:         0
        .size:           4
        .value_kind:     by_value
      - .offset:         8
        .size:           16
        .value_kind:     by_value
      - .offset:         24
        .size:           8
        .value_kind:     by_value
      - .actual_access:  read_only
        .address_space:  global
        .offset:         32
        .size:           8
        .value_kind:     global_buffer
      - .actual_access:  read_only
        .address_space:  global
        .offset:         40
        .size:           8
        .value_kind:     global_buffer
      - .actual_access:  read_only
        .address_space:  global
        .offset:         48
        .size:           8
        .value_kind:     global_buffer
      - .actual_access:  read_only
        .address_space:  global
        .offset:         56
        .size:           8
        .value_kind:     global_buffer
      - .actual_access:  read_only
        .address_space:  global
        .offset:         64
        .size:           8
        .value_kind:     global_buffer
      - .offset:         72
        .size:           8
        .value_kind:     by_value
      - .actual_access:  read_only
        .address_space:  global
        .offset:         80
        .size:           8
        .value_kind:     global_buffer
      - .offset:         88
        .size:           16
        .value_kind:     by_value
      - .address_space:  global
        .offset:         104
        .size:           8
        .value_kind:     global_buffer
      - .offset:         112
        .size:           4
        .value_kind:     by_value
      - .offset:         116
        .size:           1
        .value_kind:     by_value
    .group_segment_fixed_size: 0
    .kernarg_segment_align: 8
    .kernarg_segment_size: 120
    .language:       OpenCL C
    .language_version:
      - 2
      - 0
    .max_flat_workgroup_size: 64
    .name:           _ZN9rocsparseL22bsrxmvn_general_kernelILj64ELj8E21rocsparse_complex_numIdEllS2_S2_S2_EEv20rocsparse_direction_NS_24const_host_device_scalarIT1_EET3_PKS7_PKT2_SC_S9_PKT4_S7_PKT5_S6_PT6_21rocsparse_index_base_b
    .private_segment_fixed_size: 0
    .sgpr_count:     38
    .sgpr_spill_count: 0
    .symbol:         _ZN9rocsparseL22bsrxmvn_general_kernelILj64ELj8E21rocsparse_complex_numIdEllS2_S2_S2_EEv20rocsparse_direction_NS_24const_host_device_scalarIT1_EET3_PKS7_PKT2_SC_S9_PKT4_S7_PKT5_S6_PT6_21rocsparse_index_base_b.kd
    .uniform_work_group_size: 1
    .uses_dynamic_stack: false
    .vgpr_count:     39
    .vgpr_spill_count: 0
    .wavefront_size: 32
    .workgroup_processor_mode: 1
  - .args:
      - .offset:         0
        .size:           4
        .value_kind:     by_value
      - .offset:         8
        .size:           16
        .value_kind:     by_value
      - .offset:         24
        .size:           8
        .value_kind:     by_value
      - .actual_access:  read_only
        .address_space:  global
        .offset:         32
        .size:           8
        .value_kind:     global_buffer
      - .actual_access:  read_only
        .address_space:  global
        .offset:         40
        .size:           8
        .value_kind:     global_buffer
      - .actual_access:  read_only
        .address_space:  global
        .offset:         48
        .size:           8
        .value_kind:     global_buffer
      - .actual_access:  read_only
        .address_space:  global
        .offset:         56
        .size:           8
        .value_kind:     global_buffer
      - .actual_access:  read_only
        .address_space:  global
        .offset:         64
        .size:           8
        .value_kind:     global_buffer
      - .offset:         72
        .size:           8
        .value_kind:     by_value
      - .actual_access:  read_only
        .address_space:  global
        .offset:         80
        .size:           8
        .value_kind:     global_buffer
      - .offset:         88
        .size:           16
        .value_kind:     by_value
      - .address_space:  global
        .offset:         104
        .size:           8
        .value_kind:     global_buffer
      - .offset:         112
        .size:           4
        .value_kind:     by_value
      - .offset:         116
        .size:           1
        .value_kind:     by_value
    .group_segment_fixed_size: 0
    .kernarg_segment_align: 8
    .kernarg_segment_size: 120
    .language:       OpenCL C
    .language_version:
      - 2
      - 0
    .max_flat_workgroup_size: 256
    .name:           _ZN9rocsparseL22bsrxmvn_general_kernelILj256ELj16E21rocsparse_complex_numIdEllS2_S2_S2_EEv20rocsparse_direction_NS_24const_host_device_scalarIT1_EET3_PKS7_PKT2_SC_S9_PKT4_S7_PKT5_S6_PT6_21rocsparse_index_base_b
    .private_segment_fixed_size: 0
    .sgpr_count:     38
    .sgpr_spill_count: 0
    .symbol:         _ZN9rocsparseL22bsrxmvn_general_kernelILj256ELj16E21rocsparse_complex_numIdEllS2_S2_S2_EEv20rocsparse_direction_NS_24const_host_device_scalarIT1_EET3_PKS7_PKT2_SC_S9_PKT4_S7_PKT5_S6_PT6_21rocsparse_index_base_b.kd
    .uniform_work_group_size: 1
    .uses_dynamic_stack: false
    .vgpr_count:     40
    .vgpr_spill_count: 0
    .wavefront_size: 32
    .workgroup_processor_mode: 1
  - .args:
      - .offset:         0
        .size:           4
        .value_kind:     by_value
      - .offset:         8
        .size:           16
        .value_kind:     by_value
      - .offset:         24
        .size:           8
        .value_kind:     by_value
      - .actual_access:  read_only
        .address_space:  global
        .offset:         32
        .size:           8
        .value_kind:     global_buffer
      - .actual_access:  read_only
        .address_space:  global
        .offset:         40
        .size:           8
        .value_kind:     global_buffer
      - .actual_access:  read_only
        .address_space:  global
        .offset:         48
        .size:           8
        .value_kind:     global_buffer
      - .actual_access:  read_only
        .address_space:  global
        .offset:         56
        .size:           8
        .value_kind:     global_buffer
      - .actual_access:  read_only
        .address_space:  global
        .offset:         64
        .size:           8
        .value_kind:     global_buffer
      - .offset:         72
        .size:           8
        .value_kind:     by_value
      - .actual_access:  read_only
        .address_space:  global
        .offset:         80
        .size:           8
        .value_kind:     global_buffer
      - .offset:         88
        .size:           16
        .value_kind:     by_value
      - .address_space:  global
        .offset:         104
        .size:           8
        .value_kind:     global_buffer
      - .offset:         112
        .size:           4
        .value_kind:     by_value
      - .offset:         116
        .size:           1
        .value_kind:     by_value
    .group_segment_fixed_size: 0
    .kernarg_segment_align: 8
    .kernarg_segment_size: 120
    .language:       OpenCL C
    .language_version:
      - 2
      - 0
    .max_flat_workgroup_size: 1024
    .name:           _ZN9rocsparseL22bsrxmvn_general_kernelILj1024ELj32E21rocsparse_complex_numIdEllS2_S2_S2_EEv20rocsparse_direction_NS_24const_host_device_scalarIT1_EET3_PKS7_PKT2_SC_S9_PKT4_S7_PKT5_S6_PT6_21rocsparse_index_base_b
    .private_segment_fixed_size: 0
    .sgpr_count:     38
    .sgpr_spill_count: 0
    .symbol:         _ZN9rocsparseL22bsrxmvn_general_kernelILj1024ELj32E21rocsparse_complex_numIdEllS2_S2_S2_EEv20rocsparse_direction_NS_24const_host_device_scalarIT1_EET3_PKS7_PKT2_SC_S9_PKT4_S7_PKT5_S6_PT6_21rocsparse_index_base_b.kd
    .uniform_work_group_size: 1
    .uses_dynamic_stack: false
    .vgpr_count:     41
    .vgpr_spill_count: 0
    .wavefront_size: 32
    .workgroup_processor_mode: 1
  - .args:
      - .offset:         0
        .size:           4
        .value_kind:     by_value
      - .offset:         8
        .size:           8
        .value_kind:     by_value
      - .offset:         16
        .size:           4
        .value_kind:     by_value
      - .actual_access:  read_only
        .address_space:  global
        .offset:         24
        .size:           8
        .value_kind:     global_buffer
      - .actual_access:  read_only
        .address_space:  global
        .offset:         32
        .size:           8
        .value_kind:     global_buffer
      - .actual_access:  read_only
        .address_space:  global
        .offset:         40
        .size:           8
        .value_kind:     global_buffer
      - .actual_access:  read_only
        .address_space:  global
        .offset:         48
        .size:           8
        .value_kind:     global_buffer
      - .actual_access:  read_only
        .address_space:  global
        .offset:         56
        .size:           8
        .value_kind:     global_buffer
      - .offset:         64
        .size:           4
        .value_kind:     by_value
      - .actual_access:  read_only
        .address_space:  global
        .offset:         72
        .size:           8
        .value_kind:     global_buffer
      - .offset:         80
        .size:           8
        .value_kind:     by_value
      - .address_space:  global
        .offset:         88
        .size:           8
        .value_kind:     global_buffer
      - .offset:         96
        .size:           4
        .value_kind:     by_value
      - .offset:         100
        .size:           1
        .value_kind:     by_value
    .group_segment_fixed_size: 0
    .kernarg_segment_align: 8
    .kernarg_segment_size: 104
    .language:       OpenCL C
    .language_version:
      - 2
      - 0
    .max_flat_workgroup_size: 64
    .name:           _ZN9rocsparseL22bsrxmvn_general_kernelILj64ELj8EiiiaaiEEv20rocsparse_direction_NS_24const_host_device_scalarIT1_EET3_PKS5_PKT2_SA_S7_PKT4_S5_PKT5_S4_PT6_21rocsparse_index_base_b
    .private_segment_fixed_size: 0
    .sgpr_count:     34
    .sgpr_spill_count: 0
    .symbol:         _ZN9rocsparseL22bsrxmvn_general_kernelILj64ELj8EiiiaaiEEv20rocsparse_direction_NS_24const_host_device_scalarIT1_EET3_PKS5_PKT2_SA_S7_PKT4_S5_PKT5_S4_PT6_21rocsparse_index_base_b.kd
    .uniform_work_group_size: 1
    .uses_dynamic_stack: false
    .vgpr_count:     21
    .vgpr_spill_count: 0
    .wavefront_size: 32
    .workgroup_processor_mode: 1
  - .args:
      - .offset:         0
        .size:           4
        .value_kind:     by_value
      - .offset:         8
        .size:           8
        .value_kind:     by_value
      - .offset:         16
        .size:           4
        .value_kind:     by_value
      - .actual_access:  read_only
        .address_space:  global
        .offset:         24
        .size:           8
        .value_kind:     global_buffer
      - .actual_access:  read_only
        .address_space:  global
        .offset:         32
        .size:           8
        .value_kind:     global_buffer
      - .actual_access:  read_only
        .address_space:  global
        .offset:         40
        .size:           8
        .value_kind:     global_buffer
      - .actual_access:  read_only
        .address_space:  global
        .offset:         48
        .size:           8
        .value_kind:     global_buffer
      - .actual_access:  read_only
        .address_space:  global
        .offset:         56
        .size:           8
        .value_kind:     global_buffer
      - .offset:         64
        .size:           4
        .value_kind:     by_value
      - .actual_access:  read_only
        .address_space:  global
        .offset:         72
        .size:           8
        .value_kind:     global_buffer
      - .offset:         80
        .size:           8
        .value_kind:     by_value
      - .address_space:  global
        .offset:         88
        .size:           8
        .value_kind:     global_buffer
      - .offset:         96
        .size:           4
        .value_kind:     by_value
      - .offset:         100
        .size:           1
        .value_kind:     by_value
    .group_segment_fixed_size: 0
    .kernarg_segment_align: 8
    .kernarg_segment_size: 104
    .language:       OpenCL C
    .language_version:
      - 2
      - 0
    .max_flat_workgroup_size: 256
    .name:           _ZN9rocsparseL22bsrxmvn_general_kernelILj256ELj16EiiiaaiEEv20rocsparse_direction_NS_24const_host_device_scalarIT1_EET3_PKS5_PKT2_SA_S7_PKT4_S5_PKT5_S4_PT6_21rocsparse_index_base_b
    .private_segment_fixed_size: 0
    .sgpr_count:     34
    .sgpr_spill_count: 0
    .symbol:         _ZN9rocsparseL22bsrxmvn_general_kernelILj256ELj16EiiiaaiEEv20rocsparse_direction_NS_24const_host_device_scalarIT1_EET3_PKS5_PKT2_SA_S7_PKT4_S5_PKT5_S4_PT6_21rocsparse_index_base_b.kd
    .uniform_work_group_size: 1
    .uses_dynamic_stack: false
    .vgpr_count:     22
    .vgpr_spill_count: 0
    .wavefront_size: 32
    .workgroup_processor_mode: 1
  - .args:
      - .offset:         0
        .size:           4
        .value_kind:     by_value
      - .offset:         8
        .size:           8
        .value_kind:     by_value
      - .offset:         16
        .size:           4
        .value_kind:     by_value
      - .actual_access:  read_only
        .address_space:  global
        .offset:         24
        .size:           8
        .value_kind:     global_buffer
      - .actual_access:  read_only
        .address_space:  global
        .offset:         32
        .size:           8
        .value_kind:     global_buffer
      - .actual_access:  read_only
        .address_space:  global
        .offset:         40
        .size:           8
        .value_kind:     global_buffer
      - .actual_access:  read_only
        .address_space:  global
        .offset:         48
        .size:           8
        .value_kind:     global_buffer
      - .actual_access:  read_only
        .address_space:  global
        .offset:         56
        .size:           8
        .value_kind:     global_buffer
      - .offset:         64
        .size:           4
        .value_kind:     by_value
      - .actual_access:  read_only
        .address_space:  global
        .offset:         72
        .size:           8
        .value_kind:     global_buffer
      - .offset:         80
        .size:           8
        .value_kind:     by_value
      - .address_space:  global
        .offset:         88
        .size:           8
        .value_kind:     global_buffer
      - .offset:         96
        .size:           4
        .value_kind:     by_value
      - .offset:         100
        .size:           1
        .value_kind:     by_value
    .group_segment_fixed_size: 0
    .kernarg_segment_align: 8
    .kernarg_segment_size: 104
    .language:       OpenCL C
    .language_version:
      - 2
      - 0
    .max_flat_workgroup_size: 1024
    .name:           _ZN9rocsparseL22bsrxmvn_general_kernelILj1024ELj32EiiiaaiEEv20rocsparse_direction_NS_24const_host_device_scalarIT1_EET3_PKS5_PKT2_SA_S7_PKT4_S5_PKT5_S4_PT6_21rocsparse_index_base_b
    .private_segment_fixed_size: 0
    .sgpr_count:     34
    .sgpr_spill_count: 0
    .symbol:         _ZN9rocsparseL22bsrxmvn_general_kernelILj1024ELj32EiiiaaiEEv20rocsparse_direction_NS_24const_host_device_scalarIT1_EET3_PKS5_PKT2_SA_S7_PKT4_S5_PKT5_S4_PT6_21rocsparse_index_base_b.kd
    .uniform_work_group_size: 1
    .uses_dynamic_stack: false
    .vgpr_count:     23
    .vgpr_spill_count: 0
    .wavefront_size: 32
    .workgroup_processor_mode: 1
  - .args:
      - .offset:         0
        .size:           4
        .value_kind:     by_value
      - .offset:         8
        .size:           8
        .value_kind:     by_value
      - .offset:         16
        .size:           4
        .value_kind:     by_value
      - .actual_access:  read_only
        .address_space:  global
        .offset:         24
        .size:           8
        .value_kind:     global_buffer
      - .actual_access:  read_only
        .address_space:  global
        .offset:         32
        .size:           8
        .value_kind:     global_buffer
      - .actual_access:  read_only
        .address_space:  global
        .offset:         40
        .size:           8
        .value_kind:     global_buffer
      - .actual_access:  read_only
        .address_space:  global
        .offset:         48
        .size:           8
        .value_kind:     global_buffer
      - .actual_access:  read_only
        .address_space:  global
        .offset:         56
        .size:           8
        .value_kind:     global_buffer
      - .offset:         64
        .size:           4
        .value_kind:     by_value
      - .actual_access:  read_only
        .address_space:  global
        .offset:         72
        .size:           8
        .value_kind:     global_buffer
      - .offset:         80
        .size:           8
        .value_kind:     by_value
      - .address_space:  global
        .offset:         88
        .size:           8
        .value_kind:     global_buffer
      - .offset:         96
        .size:           4
        .value_kind:     by_value
      - .offset:         100
        .size:           1
        .value_kind:     by_value
    .group_segment_fixed_size: 0
    .kernarg_segment_align: 8
    .kernarg_segment_size: 104
    .language:       OpenCL C
    .language_version:
      - 2
      - 0
    .max_flat_workgroup_size: 64
    .name:           _ZN9rocsparseL22bsrxmvn_general_kernelILj64ELj8EiliaaiEEv20rocsparse_direction_NS_24const_host_device_scalarIT1_EET3_PKS5_PKT2_SA_S7_PKT4_S5_PKT5_S4_PT6_21rocsparse_index_base_b
    .private_segment_fixed_size: 0
    .sgpr_count:     38
    .sgpr_spill_count: 0
    .symbol:         _ZN9rocsparseL22bsrxmvn_general_kernelILj64ELj8EiliaaiEEv20rocsparse_direction_NS_24const_host_device_scalarIT1_EET3_PKS5_PKT2_SA_S7_PKT4_S5_PKT5_S4_PT6_21rocsparse_index_base_b.kd
    .uniform_work_group_size: 1
    .uses_dynamic_stack: false
    .vgpr_count:     21
    .vgpr_spill_count: 0
    .wavefront_size: 32
    .workgroup_processor_mode: 1
  - .args:
      - .offset:         0
        .size:           4
        .value_kind:     by_value
      - .offset:         8
        .size:           8
        .value_kind:     by_value
      - .offset:         16
        .size:           4
        .value_kind:     by_value
      - .actual_access:  read_only
        .address_space:  global
        .offset:         24
        .size:           8
        .value_kind:     global_buffer
      - .actual_access:  read_only
        .address_space:  global
        .offset:         32
        .size:           8
        .value_kind:     global_buffer
      - .actual_access:  read_only
        .address_space:  global
        .offset:         40
        .size:           8
        .value_kind:     global_buffer
      - .actual_access:  read_only
        .address_space:  global
        .offset:         48
        .size:           8
        .value_kind:     global_buffer
      - .actual_access:  read_only
        .address_space:  global
        .offset:         56
        .size:           8
        .value_kind:     global_buffer
      - .offset:         64
        .size:           4
        .value_kind:     by_value
      - .actual_access:  read_only
        .address_space:  global
        .offset:         72
        .size:           8
        .value_kind:     global_buffer
      - .offset:         80
        .size:           8
        .value_kind:     by_value
      - .address_space:  global
        .offset:         88
        .size:           8
        .value_kind:     global_buffer
      - .offset:         96
        .size:           4
        .value_kind:     by_value
      - .offset:         100
        .size:           1
        .value_kind:     by_value
    .group_segment_fixed_size: 0
    .kernarg_segment_align: 8
    .kernarg_segment_size: 104
    .language:       OpenCL C
    .language_version:
      - 2
      - 0
    .max_flat_workgroup_size: 256
    .name:           _ZN9rocsparseL22bsrxmvn_general_kernelILj256ELj16EiliaaiEEv20rocsparse_direction_NS_24const_host_device_scalarIT1_EET3_PKS5_PKT2_SA_S7_PKT4_S5_PKT5_S4_PT6_21rocsparse_index_base_b
    .private_segment_fixed_size: 0
    .sgpr_count:     38
    .sgpr_spill_count: 0
    .symbol:         _ZN9rocsparseL22bsrxmvn_general_kernelILj256ELj16EiliaaiEEv20rocsparse_direction_NS_24const_host_device_scalarIT1_EET3_PKS5_PKT2_SA_S7_PKT4_S5_PKT5_S4_PT6_21rocsparse_index_base_b.kd
    .uniform_work_group_size: 1
    .uses_dynamic_stack: false
    .vgpr_count:     22
    .vgpr_spill_count: 0
    .wavefront_size: 32
    .workgroup_processor_mode: 1
  - .args:
      - .offset:         0
        .size:           4
        .value_kind:     by_value
      - .offset:         8
        .size:           8
        .value_kind:     by_value
      - .offset:         16
        .size:           4
        .value_kind:     by_value
      - .actual_access:  read_only
        .address_space:  global
        .offset:         24
        .size:           8
        .value_kind:     global_buffer
      - .actual_access:  read_only
        .address_space:  global
        .offset:         32
        .size:           8
        .value_kind:     global_buffer
      - .actual_access:  read_only
        .address_space:  global
        .offset:         40
        .size:           8
        .value_kind:     global_buffer
      - .actual_access:  read_only
        .address_space:  global
        .offset:         48
        .size:           8
        .value_kind:     global_buffer
      - .actual_access:  read_only
        .address_space:  global
        .offset:         56
        .size:           8
        .value_kind:     global_buffer
      - .offset:         64
        .size:           4
        .value_kind:     by_value
      - .actual_access:  read_only
        .address_space:  global
        .offset:         72
        .size:           8
        .value_kind:     global_buffer
      - .offset:         80
        .size:           8
        .value_kind:     by_value
      - .address_space:  global
        .offset:         88
        .size:           8
        .value_kind:     global_buffer
      - .offset:         96
        .size:           4
        .value_kind:     by_value
      - .offset:         100
        .size:           1
        .value_kind:     by_value
    .group_segment_fixed_size: 0
    .kernarg_segment_align: 8
    .kernarg_segment_size: 104
    .language:       OpenCL C
    .language_version:
      - 2
      - 0
    .max_flat_workgroup_size: 1024
    .name:           _ZN9rocsparseL22bsrxmvn_general_kernelILj1024ELj32EiliaaiEEv20rocsparse_direction_NS_24const_host_device_scalarIT1_EET3_PKS5_PKT2_SA_S7_PKT4_S5_PKT5_S4_PT6_21rocsparse_index_base_b
    .private_segment_fixed_size: 0
    .sgpr_count:     38
    .sgpr_spill_count: 0
    .symbol:         _ZN9rocsparseL22bsrxmvn_general_kernelILj1024ELj32EiliaaiEEv20rocsparse_direction_NS_24const_host_device_scalarIT1_EET3_PKS5_PKT2_SA_S7_PKT4_S5_PKT5_S4_PT6_21rocsparse_index_base_b.kd
    .uniform_work_group_size: 1
    .uses_dynamic_stack: false
    .vgpr_count:     23
    .vgpr_spill_count: 0
    .wavefront_size: 32
    .workgroup_processor_mode: 1
  - .args:
      - .offset:         0
        .size:           4
        .value_kind:     by_value
      - .offset:         8
        .size:           8
        .value_kind:     by_value
      - .offset:         16
        .size:           8
        .value_kind:     by_value
      - .actual_access:  read_only
        .address_space:  global
        .offset:         24
        .size:           8
        .value_kind:     global_buffer
      - .actual_access:  read_only
        .address_space:  global
        .offset:         32
        .size:           8
        .value_kind:     global_buffer
      - .actual_access:  read_only
        .address_space:  global
        .offset:         40
        .size:           8
        .value_kind:     global_buffer
      - .actual_access:  read_only
        .address_space:  global
        .offset:         48
        .size:           8
        .value_kind:     global_buffer
      - .actual_access:  read_only
        .address_space:  global
        .offset:         56
        .size:           8
        .value_kind:     global_buffer
      - .offset:         64
        .size:           8
        .value_kind:     by_value
      - .actual_access:  read_only
        .address_space:  global
        .offset:         72
        .size:           8
        .value_kind:     global_buffer
      - .offset:         80
        .size:           8
        .value_kind:     by_value
      - .address_space:  global
        .offset:         88
        .size:           8
        .value_kind:     global_buffer
      - .offset:         96
        .size:           4
        .value_kind:     by_value
      - .offset:         100
        .size:           1
        .value_kind:     by_value
    .group_segment_fixed_size: 0
    .kernarg_segment_align: 8
    .kernarg_segment_size: 104
    .language:       OpenCL C
    .language_version:
      - 2
      - 0
    .max_flat_workgroup_size: 64
    .name:           _ZN9rocsparseL22bsrxmvn_general_kernelILj64ELj8EillaaiEEv20rocsparse_direction_NS_24const_host_device_scalarIT1_EET3_PKS5_PKT2_SA_S7_PKT4_S5_PKT5_S4_PT6_21rocsparse_index_base_b
    .private_segment_fixed_size: 0
    .sgpr_count:     40
    .sgpr_spill_count: 0
    .symbol:         _ZN9rocsparseL22bsrxmvn_general_kernelILj64ELj8EillaaiEEv20rocsparse_direction_NS_24const_host_device_scalarIT1_EET3_PKS5_PKT2_SA_S7_PKT4_S5_PKT5_S4_PT6_21rocsparse_index_base_b.kd
    .uniform_work_group_size: 1
    .uses_dynamic_stack: false
    .vgpr_count:     18
    .vgpr_spill_count: 0
    .wavefront_size: 32
    .workgroup_processor_mode: 1
  - .args:
      - .offset:         0
        .size:           4
        .value_kind:     by_value
      - .offset:         8
        .size:           8
        .value_kind:     by_value
      - .offset:         16
        .size:           8
        .value_kind:     by_value
      - .actual_access:  read_only
        .address_space:  global
        .offset:         24
        .size:           8
        .value_kind:     global_buffer
      - .actual_access:  read_only
        .address_space:  global
        .offset:         32
        .size:           8
        .value_kind:     global_buffer
      - .actual_access:  read_only
        .address_space:  global
        .offset:         40
        .size:           8
        .value_kind:     global_buffer
      - .actual_access:  read_only
        .address_space:  global
        .offset:         48
        .size:           8
        .value_kind:     global_buffer
      - .actual_access:  read_only
        .address_space:  global
        .offset:         56
        .size:           8
        .value_kind:     global_buffer
      - .offset:         64
        .size:           8
        .value_kind:     by_value
      - .actual_access:  read_only
        .address_space:  global
        .offset:         72
        .size:           8
        .value_kind:     global_buffer
      - .offset:         80
        .size:           8
        .value_kind:     by_value
      - .address_space:  global
        .offset:         88
        .size:           8
        .value_kind:     global_buffer
      - .offset:         96
        .size:           4
        .value_kind:     by_value
      - .offset:         100
        .size:           1
        .value_kind:     by_value
    .group_segment_fixed_size: 0
    .kernarg_segment_align: 8
    .kernarg_segment_size: 104
    .language:       OpenCL C
    .language_version:
      - 2
      - 0
    .max_flat_workgroup_size: 256
    .name:           _ZN9rocsparseL22bsrxmvn_general_kernelILj256ELj16EillaaiEEv20rocsparse_direction_NS_24const_host_device_scalarIT1_EET3_PKS5_PKT2_SA_S7_PKT4_S5_PKT5_S4_PT6_21rocsparse_index_base_b
    .private_segment_fixed_size: 0
    .sgpr_count:     40
    .sgpr_spill_count: 0
    .symbol:         _ZN9rocsparseL22bsrxmvn_general_kernelILj256ELj16EillaaiEEv20rocsparse_direction_NS_24const_host_device_scalarIT1_EET3_PKS5_PKT2_SA_S7_PKT4_S5_PKT5_S4_PT6_21rocsparse_index_base_b.kd
    .uniform_work_group_size: 1
    .uses_dynamic_stack: false
    .vgpr_count:     19
    .vgpr_spill_count: 0
    .wavefront_size: 32
    .workgroup_processor_mode: 1
  - .args:
      - .offset:         0
        .size:           4
        .value_kind:     by_value
      - .offset:         8
        .size:           8
        .value_kind:     by_value
      - .offset:         16
        .size:           8
        .value_kind:     by_value
      - .actual_access:  read_only
        .address_space:  global
        .offset:         24
        .size:           8
        .value_kind:     global_buffer
      - .actual_access:  read_only
        .address_space:  global
        .offset:         32
        .size:           8
        .value_kind:     global_buffer
      - .actual_access:  read_only
        .address_space:  global
        .offset:         40
        .size:           8
        .value_kind:     global_buffer
      - .actual_access:  read_only
        .address_space:  global
        .offset:         48
        .size:           8
        .value_kind:     global_buffer
      - .actual_access:  read_only
        .address_space:  global
        .offset:         56
        .size:           8
        .value_kind:     global_buffer
      - .offset:         64
        .size:           8
        .value_kind:     by_value
      - .actual_access:  read_only
        .address_space:  global
        .offset:         72
        .size:           8
        .value_kind:     global_buffer
      - .offset:         80
        .size:           8
        .value_kind:     by_value
      - .address_space:  global
        .offset:         88
        .size:           8
        .value_kind:     global_buffer
      - .offset:         96
        .size:           4
        .value_kind:     by_value
      - .offset:         100
        .size:           1
        .value_kind:     by_value
    .group_segment_fixed_size: 0
    .kernarg_segment_align: 8
    .kernarg_segment_size: 104
    .language:       OpenCL C
    .language_version:
      - 2
      - 0
    .max_flat_workgroup_size: 1024
    .name:           _ZN9rocsparseL22bsrxmvn_general_kernelILj1024ELj32EillaaiEEv20rocsparse_direction_NS_24const_host_device_scalarIT1_EET3_PKS5_PKT2_SA_S7_PKT4_S5_PKT5_S4_PT6_21rocsparse_index_base_b
    .private_segment_fixed_size: 0
    .sgpr_count:     40
    .sgpr_spill_count: 0
    .symbol:         _ZN9rocsparseL22bsrxmvn_general_kernelILj1024ELj32EillaaiEEv20rocsparse_direction_NS_24const_host_device_scalarIT1_EET3_PKS5_PKT2_SA_S7_PKT4_S5_PKT5_S4_PT6_21rocsparse_index_base_b.kd
    .uniform_work_group_size: 1
    .uses_dynamic_stack: false
    .vgpr_count:     20
    .vgpr_spill_count: 0
    .wavefront_size: 32
    .workgroup_processor_mode: 1
  - .args:
      - .offset:         0
        .size:           4
        .value_kind:     by_value
      - .offset:         8
        .size:           8
        .value_kind:     by_value
      - .offset:         16
        .size:           4
        .value_kind:     by_value
      - .actual_access:  read_only
        .address_space:  global
        .offset:         24
        .size:           8
        .value_kind:     global_buffer
      - .actual_access:  read_only
        .address_space:  global
        .offset:         32
        .size:           8
        .value_kind:     global_buffer
      - .actual_access:  read_only
        .address_space:  global
        .offset:         40
        .size:           8
        .value_kind:     global_buffer
      - .actual_access:  read_only
        .address_space:  global
        .offset:         48
        .size:           8
        .value_kind:     global_buffer
      - .actual_access:  read_only
        .address_space:  global
        .offset:         56
        .size:           8
        .value_kind:     global_buffer
      - .offset:         64
        .size:           4
        .value_kind:     by_value
      - .actual_access:  read_only
        .address_space:  global
        .offset:         72
        .size:           8
        .value_kind:     global_buffer
      - .offset:         80
        .size:           8
        .value_kind:     by_value
      - .address_space:  global
        .offset:         88
        .size:           8
        .value_kind:     global_buffer
      - .offset:         96
        .size:           4
        .value_kind:     by_value
      - .offset:         100
        .size:           1
        .value_kind:     by_value
    .group_segment_fixed_size: 0
    .kernarg_segment_align: 8
    .kernarg_segment_size: 104
    .language:       OpenCL C
    .language_version:
      - 2
      - 0
    .max_flat_workgroup_size: 64
    .name:           _ZN9rocsparseL22bsrxmvn_general_kernelILj64ELj8EfiiaafEEv20rocsparse_direction_NS_24const_host_device_scalarIT1_EET3_PKS5_PKT2_SA_S7_PKT4_S5_PKT5_S4_PT6_21rocsparse_index_base_b
    .private_segment_fixed_size: 0
    .sgpr_count:     34
    .sgpr_spill_count: 0
    .symbol:         _ZN9rocsparseL22bsrxmvn_general_kernelILj64ELj8EfiiaafEEv20rocsparse_direction_NS_24const_host_device_scalarIT1_EET3_PKS5_PKT2_SA_S7_PKT4_S5_PKT5_S4_PT6_21rocsparse_index_base_b.kd
    .uniform_work_group_size: 1
    .uses_dynamic_stack: false
    .vgpr_count:     21
    .vgpr_spill_count: 0
    .wavefront_size: 32
    .workgroup_processor_mode: 1
  - .args:
      - .offset:         0
        .size:           4
        .value_kind:     by_value
      - .offset:         8
        .size:           8
        .value_kind:     by_value
      - .offset:         16
        .size:           4
        .value_kind:     by_value
      - .actual_access:  read_only
        .address_space:  global
        .offset:         24
        .size:           8
        .value_kind:     global_buffer
      - .actual_access:  read_only
        .address_space:  global
        .offset:         32
        .size:           8
        .value_kind:     global_buffer
      - .actual_access:  read_only
        .address_space:  global
        .offset:         40
        .size:           8
        .value_kind:     global_buffer
      - .actual_access:  read_only
        .address_space:  global
        .offset:         48
        .size:           8
        .value_kind:     global_buffer
      - .actual_access:  read_only
        .address_space:  global
        .offset:         56
        .size:           8
        .value_kind:     global_buffer
      - .offset:         64
        .size:           4
        .value_kind:     by_value
      - .actual_access:  read_only
        .address_space:  global
        .offset:         72
        .size:           8
        .value_kind:     global_buffer
      - .offset:         80
        .size:           8
        .value_kind:     by_value
      - .address_space:  global
        .offset:         88
        .size:           8
        .value_kind:     global_buffer
      - .offset:         96
        .size:           4
        .value_kind:     by_value
      - .offset:         100
        .size:           1
        .value_kind:     by_value
    .group_segment_fixed_size: 0
    .kernarg_segment_align: 8
    .kernarg_segment_size: 104
    .language:       OpenCL C
    .language_version:
      - 2
      - 0
    .max_flat_workgroup_size: 256
    .name:           _ZN9rocsparseL22bsrxmvn_general_kernelILj256ELj16EfiiaafEEv20rocsparse_direction_NS_24const_host_device_scalarIT1_EET3_PKS5_PKT2_SA_S7_PKT4_S5_PKT5_S4_PT6_21rocsparse_index_base_b
    .private_segment_fixed_size: 0
    .sgpr_count:     34
    .sgpr_spill_count: 0
    .symbol:         _ZN9rocsparseL22bsrxmvn_general_kernelILj256ELj16EfiiaafEEv20rocsparse_direction_NS_24const_host_device_scalarIT1_EET3_PKS5_PKT2_SA_S7_PKT4_S5_PKT5_S4_PT6_21rocsparse_index_base_b.kd
    .uniform_work_group_size: 1
    .uses_dynamic_stack: false
    .vgpr_count:     22
    .vgpr_spill_count: 0
    .wavefront_size: 32
    .workgroup_processor_mode: 1
  - .args:
      - .offset:         0
        .size:           4
        .value_kind:     by_value
      - .offset:         8
        .size:           8
        .value_kind:     by_value
      - .offset:         16
        .size:           4
        .value_kind:     by_value
      - .actual_access:  read_only
        .address_space:  global
        .offset:         24
        .size:           8
        .value_kind:     global_buffer
      - .actual_access:  read_only
        .address_space:  global
        .offset:         32
        .size:           8
        .value_kind:     global_buffer
      - .actual_access:  read_only
        .address_space:  global
        .offset:         40
        .size:           8
        .value_kind:     global_buffer
      - .actual_access:  read_only
        .address_space:  global
        .offset:         48
        .size:           8
        .value_kind:     global_buffer
      - .actual_access:  read_only
        .address_space:  global
        .offset:         56
        .size:           8
        .value_kind:     global_buffer
      - .offset:         64
        .size:           4
        .value_kind:     by_value
      - .actual_access:  read_only
        .address_space:  global
        .offset:         72
        .size:           8
        .value_kind:     global_buffer
      - .offset:         80
        .size:           8
        .value_kind:     by_value
      - .address_space:  global
        .offset:         88
        .size:           8
        .value_kind:     global_buffer
      - .offset:         96
        .size:           4
        .value_kind:     by_value
      - .offset:         100
        .size:           1
        .value_kind:     by_value
    .group_segment_fixed_size: 0
    .kernarg_segment_align: 8
    .kernarg_segment_size: 104
    .language:       OpenCL C
    .language_version:
      - 2
      - 0
    .max_flat_workgroup_size: 1024
    .name:           _ZN9rocsparseL22bsrxmvn_general_kernelILj1024ELj32EfiiaafEEv20rocsparse_direction_NS_24const_host_device_scalarIT1_EET3_PKS5_PKT2_SA_S7_PKT4_S5_PKT5_S4_PT6_21rocsparse_index_base_b
    .private_segment_fixed_size: 0
    .sgpr_count:     34
    .sgpr_spill_count: 0
    .symbol:         _ZN9rocsparseL22bsrxmvn_general_kernelILj1024ELj32EfiiaafEEv20rocsparse_direction_NS_24const_host_device_scalarIT1_EET3_PKS5_PKT2_SA_S7_PKT4_S5_PKT5_S4_PT6_21rocsparse_index_base_b.kd
    .uniform_work_group_size: 1
    .uses_dynamic_stack: false
    .vgpr_count:     23
    .vgpr_spill_count: 0
    .wavefront_size: 32
    .workgroup_processor_mode: 1
  - .args:
      - .offset:         0
        .size:           4
        .value_kind:     by_value
      - .offset:         8
        .size:           8
        .value_kind:     by_value
      - .offset:         16
        .size:           4
        .value_kind:     by_value
      - .actual_access:  read_only
        .address_space:  global
        .offset:         24
        .size:           8
        .value_kind:     global_buffer
      - .actual_access:  read_only
        .address_space:  global
        .offset:         32
        .size:           8
        .value_kind:     global_buffer
      - .actual_access:  read_only
        .address_space:  global
        .offset:         40
        .size:           8
        .value_kind:     global_buffer
      - .actual_access:  read_only
        .address_space:  global
        .offset:         48
        .size:           8
        .value_kind:     global_buffer
      - .actual_access:  read_only
        .address_space:  global
        .offset:         56
        .size:           8
        .value_kind:     global_buffer
      - .offset:         64
        .size:           4
        .value_kind:     by_value
      - .actual_access:  read_only
        .address_space:  global
        .offset:         72
        .size:           8
        .value_kind:     global_buffer
      - .offset:         80
        .size:           8
        .value_kind:     by_value
      - .address_space:  global
        .offset:         88
        .size:           8
        .value_kind:     global_buffer
      - .offset:         96
        .size:           4
        .value_kind:     by_value
      - .offset:         100
        .size:           1
        .value_kind:     by_value
    .group_segment_fixed_size: 0
    .kernarg_segment_align: 8
    .kernarg_segment_size: 104
    .language:       OpenCL C
    .language_version:
      - 2
      - 0
    .max_flat_workgroup_size: 64
    .name:           _ZN9rocsparseL22bsrxmvn_general_kernelILj64ELj8EfliaafEEv20rocsparse_direction_NS_24const_host_device_scalarIT1_EET3_PKS5_PKT2_SA_S7_PKT4_S5_PKT5_S4_PT6_21rocsparse_index_base_b
    .private_segment_fixed_size: 0
    .sgpr_count:     38
    .sgpr_spill_count: 0
    .symbol:         _ZN9rocsparseL22bsrxmvn_general_kernelILj64ELj8EfliaafEEv20rocsparse_direction_NS_24const_host_device_scalarIT1_EET3_PKS5_PKT2_SA_S7_PKT4_S5_PKT5_S4_PT6_21rocsparse_index_base_b.kd
    .uniform_work_group_size: 1
    .uses_dynamic_stack: false
    .vgpr_count:     21
    .vgpr_spill_count: 0
    .wavefront_size: 32
    .workgroup_processor_mode: 1
  - .args:
      - .offset:         0
        .size:           4
        .value_kind:     by_value
      - .offset:         8
        .size:           8
        .value_kind:     by_value
      - .offset:         16
        .size:           4
        .value_kind:     by_value
      - .actual_access:  read_only
        .address_space:  global
        .offset:         24
        .size:           8
        .value_kind:     global_buffer
      - .actual_access:  read_only
        .address_space:  global
        .offset:         32
        .size:           8
        .value_kind:     global_buffer
      - .actual_access:  read_only
        .address_space:  global
        .offset:         40
        .size:           8
        .value_kind:     global_buffer
      - .actual_access:  read_only
        .address_space:  global
        .offset:         48
        .size:           8
        .value_kind:     global_buffer
      - .actual_access:  read_only
        .address_space:  global
        .offset:         56
        .size:           8
        .value_kind:     global_buffer
      - .offset:         64
        .size:           4
        .value_kind:     by_value
      - .actual_access:  read_only
        .address_space:  global
        .offset:         72
        .size:           8
        .value_kind:     global_buffer
      - .offset:         80
        .size:           8
        .value_kind:     by_value
      - .address_space:  global
        .offset:         88
        .size:           8
        .value_kind:     global_buffer
      - .offset:         96
        .size:           4
        .value_kind:     by_value
      - .offset:         100
        .size:           1
        .value_kind:     by_value
    .group_segment_fixed_size: 0
    .kernarg_segment_align: 8
    .kernarg_segment_size: 104
    .language:       OpenCL C
    .language_version:
      - 2
      - 0
    .max_flat_workgroup_size: 256
    .name:           _ZN9rocsparseL22bsrxmvn_general_kernelILj256ELj16EfliaafEEv20rocsparse_direction_NS_24const_host_device_scalarIT1_EET3_PKS5_PKT2_SA_S7_PKT4_S5_PKT5_S4_PT6_21rocsparse_index_base_b
    .private_segment_fixed_size: 0
    .sgpr_count:     38
    .sgpr_spill_count: 0
    .symbol:         _ZN9rocsparseL22bsrxmvn_general_kernelILj256ELj16EfliaafEEv20rocsparse_direction_NS_24const_host_device_scalarIT1_EET3_PKS5_PKT2_SA_S7_PKT4_S5_PKT5_S4_PT6_21rocsparse_index_base_b.kd
    .uniform_work_group_size: 1
    .uses_dynamic_stack: false
    .vgpr_count:     22
    .vgpr_spill_count: 0
    .wavefront_size: 32
    .workgroup_processor_mode: 1
  - .args:
      - .offset:         0
        .size:           4
        .value_kind:     by_value
      - .offset:         8
        .size:           8
        .value_kind:     by_value
      - .offset:         16
        .size:           4
        .value_kind:     by_value
      - .actual_access:  read_only
        .address_space:  global
        .offset:         24
        .size:           8
        .value_kind:     global_buffer
      - .actual_access:  read_only
        .address_space:  global
        .offset:         32
        .size:           8
        .value_kind:     global_buffer
      - .actual_access:  read_only
        .address_space:  global
        .offset:         40
        .size:           8
        .value_kind:     global_buffer
      - .actual_access:  read_only
        .address_space:  global
        .offset:         48
        .size:           8
        .value_kind:     global_buffer
      - .actual_access:  read_only
        .address_space:  global
        .offset:         56
        .size:           8
        .value_kind:     global_buffer
      - .offset:         64
        .size:           4
        .value_kind:     by_value
      - .actual_access:  read_only
        .address_space:  global
        .offset:         72
        .size:           8
        .value_kind:     global_buffer
      - .offset:         80
        .size:           8
        .value_kind:     by_value
      - .address_space:  global
        .offset:         88
        .size:           8
        .value_kind:     global_buffer
      - .offset:         96
        .size:           4
        .value_kind:     by_value
      - .offset:         100
        .size:           1
        .value_kind:     by_value
    .group_segment_fixed_size: 0
    .kernarg_segment_align: 8
    .kernarg_segment_size: 104
    .language:       OpenCL C
    .language_version:
      - 2
      - 0
    .max_flat_workgroup_size: 1024
    .name:           _ZN9rocsparseL22bsrxmvn_general_kernelILj1024ELj32EfliaafEEv20rocsparse_direction_NS_24const_host_device_scalarIT1_EET3_PKS5_PKT2_SA_S7_PKT4_S5_PKT5_S4_PT6_21rocsparse_index_base_b
    .private_segment_fixed_size: 0
    .sgpr_count:     38
    .sgpr_spill_count: 0
    .symbol:         _ZN9rocsparseL22bsrxmvn_general_kernelILj1024ELj32EfliaafEEv20rocsparse_direction_NS_24const_host_device_scalarIT1_EET3_PKS5_PKT2_SA_S7_PKT4_S5_PKT5_S4_PT6_21rocsparse_index_base_b.kd
    .uniform_work_group_size: 1
    .uses_dynamic_stack: false
    .vgpr_count:     23
    .vgpr_spill_count: 0
    .wavefront_size: 32
    .workgroup_processor_mode: 1
  - .args:
      - .offset:         0
        .size:           4
        .value_kind:     by_value
      - .offset:         8
        .size:           8
        .value_kind:     by_value
      - .offset:         16
        .size:           8
        .value_kind:     by_value
      - .actual_access:  read_only
        .address_space:  global
        .offset:         24
        .size:           8
        .value_kind:     global_buffer
      - .actual_access:  read_only
        .address_space:  global
        .offset:         32
        .size:           8
        .value_kind:     global_buffer
      - .actual_access:  read_only
        .address_space:  global
        .offset:         40
        .size:           8
        .value_kind:     global_buffer
      - .actual_access:  read_only
        .address_space:  global
        .offset:         48
        .size:           8
        .value_kind:     global_buffer
      - .actual_access:  read_only
        .address_space:  global
        .offset:         56
        .size:           8
        .value_kind:     global_buffer
      - .offset:         64
        .size:           8
        .value_kind:     by_value
      - .actual_access:  read_only
        .address_space:  global
        .offset:         72
        .size:           8
        .value_kind:     global_buffer
      - .offset:         80
        .size:           8
        .value_kind:     by_value
      - .address_space:  global
        .offset:         88
        .size:           8
        .value_kind:     global_buffer
      - .offset:         96
        .size:           4
        .value_kind:     by_value
      - .offset:         100
        .size:           1
        .value_kind:     by_value
    .group_segment_fixed_size: 0
    .kernarg_segment_align: 8
    .kernarg_segment_size: 104
    .language:       OpenCL C
    .language_version:
      - 2
      - 0
    .max_flat_workgroup_size: 64
    .name:           _ZN9rocsparseL22bsrxmvn_general_kernelILj64ELj8EfllaafEEv20rocsparse_direction_NS_24const_host_device_scalarIT1_EET3_PKS5_PKT2_SA_S7_PKT4_S5_PKT5_S4_PT6_21rocsparse_index_base_b
    .private_segment_fixed_size: 0
    .sgpr_count:     40
    .sgpr_spill_count: 0
    .symbol:         _ZN9rocsparseL22bsrxmvn_general_kernelILj64ELj8EfllaafEEv20rocsparse_direction_NS_24const_host_device_scalarIT1_EET3_PKS5_PKT2_SA_S7_PKT4_S5_PKT5_S4_PT6_21rocsparse_index_base_b.kd
    .uniform_work_group_size: 1
    .uses_dynamic_stack: false
    .vgpr_count:     18
    .vgpr_spill_count: 0
    .wavefront_size: 32
    .workgroup_processor_mode: 1
  - .args:
      - .offset:         0
        .size:           4
        .value_kind:     by_value
      - .offset:         8
        .size:           8
        .value_kind:     by_value
      - .offset:         16
        .size:           8
        .value_kind:     by_value
      - .actual_access:  read_only
        .address_space:  global
        .offset:         24
        .size:           8
        .value_kind:     global_buffer
      - .actual_access:  read_only
        .address_space:  global
        .offset:         32
        .size:           8
        .value_kind:     global_buffer
      - .actual_access:  read_only
        .address_space:  global
        .offset:         40
        .size:           8
        .value_kind:     global_buffer
      - .actual_access:  read_only
        .address_space:  global
        .offset:         48
        .size:           8
        .value_kind:     global_buffer
      - .actual_access:  read_only
        .address_space:  global
        .offset:         56
        .size:           8
        .value_kind:     global_buffer
      - .offset:         64
        .size:           8
        .value_kind:     by_value
      - .actual_access:  read_only
        .address_space:  global
        .offset:         72
        .size:           8
        .value_kind:     global_buffer
      - .offset:         80
        .size:           8
        .value_kind:     by_value
      - .address_space:  global
        .offset:         88
        .size:           8
        .value_kind:     global_buffer
      - .offset:         96
        .size:           4
        .value_kind:     by_value
      - .offset:         100
        .size:           1
        .value_kind:     by_value
    .group_segment_fixed_size: 0
    .kernarg_segment_align: 8
    .kernarg_segment_size: 104
    .language:       OpenCL C
    .language_version:
      - 2
      - 0
    .max_flat_workgroup_size: 256
    .name:           _ZN9rocsparseL22bsrxmvn_general_kernelILj256ELj16EfllaafEEv20rocsparse_direction_NS_24const_host_device_scalarIT1_EET3_PKS5_PKT2_SA_S7_PKT4_S5_PKT5_S4_PT6_21rocsparse_index_base_b
    .private_segment_fixed_size: 0
    .sgpr_count:     40
    .sgpr_spill_count: 0
    .symbol:         _ZN9rocsparseL22bsrxmvn_general_kernelILj256ELj16EfllaafEEv20rocsparse_direction_NS_24const_host_device_scalarIT1_EET3_PKS5_PKT2_SA_S7_PKT4_S5_PKT5_S4_PT6_21rocsparse_index_base_b.kd
    .uniform_work_group_size: 1
    .uses_dynamic_stack: false
    .vgpr_count:     19
    .vgpr_spill_count: 0
    .wavefront_size: 32
    .workgroup_processor_mode: 1
  - .args:
      - .offset:         0
        .size:           4
        .value_kind:     by_value
      - .offset:         8
        .size:           8
        .value_kind:     by_value
      - .offset:         16
        .size:           8
        .value_kind:     by_value
      - .actual_access:  read_only
        .address_space:  global
        .offset:         24
        .size:           8
        .value_kind:     global_buffer
      - .actual_access:  read_only
        .address_space:  global
        .offset:         32
        .size:           8
        .value_kind:     global_buffer
      - .actual_access:  read_only
        .address_space:  global
        .offset:         40
        .size:           8
        .value_kind:     global_buffer
      - .actual_access:  read_only
        .address_space:  global
        .offset:         48
        .size:           8
        .value_kind:     global_buffer
      - .actual_access:  read_only
        .address_space:  global
        .offset:         56
        .size:           8
        .value_kind:     global_buffer
      - .offset:         64
        .size:           8
        .value_kind:     by_value
      - .actual_access:  read_only
        .address_space:  global
        .offset:         72
        .size:           8
        .value_kind:     global_buffer
      - .offset:         80
        .size:           8
        .value_kind:     by_value
      - .address_space:  global
        .offset:         88
        .size:           8
        .value_kind:     global_buffer
      - .offset:         96
        .size:           4
        .value_kind:     by_value
      - .offset:         100
        .size:           1
        .value_kind:     by_value
    .group_segment_fixed_size: 0
    .kernarg_segment_align: 8
    .kernarg_segment_size: 104
    .language:       OpenCL C
    .language_version:
      - 2
      - 0
    .max_flat_workgroup_size: 1024
    .name:           _ZN9rocsparseL22bsrxmvn_general_kernelILj1024ELj32EfllaafEEv20rocsparse_direction_NS_24const_host_device_scalarIT1_EET3_PKS5_PKT2_SA_S7_PKT4_S5_PKT5_S4_PT6_21rocsparse_index_base_b
    .private_segment_fixed_size: 0
    .sgpr_count:     40
    .sgpr_spill_count: 0
    .symbol:         _ZN9rocsparseL22bsrxmvn_general_kernelILj1024ELj32EfllaafEEv20rocsparse_direction_NS_24const_host_device_scalarIT1_EET3_PKS5_PKT2_SA_S7_PKT4_S5_PKT5_S4_PT6_21rocsparse_index_base_b.kd
    .uniform_work_group_size: 1
    .uses_dynamic_stack: false
    .vgpr_count:     20
    .vgpr_spill_count: 0
    .wavefront_size: 32
    .workgroup_processor_mode: 1
  - .args:
      - .offset:         0
        .size:           4
        .value_kind:     by_value
      - .offset:         8
        .size:           8
        .value_kind:     by_value
      - .offset:         16
        .size:           4
        .value_kind:     by_value
      - .actual_access:  read_only
        .address_space:  global
        .offset:         24
        .size:           8
        .value_kind:     global_buffer
      - .actual_access:  read_only
        .address_space:  global
        .offset:         32
        .size:           8
        .value_kind:     global_buffer
      - .actual_access:  read_only
        .address_space:  global
        .offset:         40
        .size:           8
        .value_kind:     global_buffer
      - .actual_access:  read_only
        .address_space:  global
        .offset:         48
        .size:           8
        .value_kind:     global_buffer
      - .actual_access:  read_only
        .address_space:  global
        .offset:         56
        .size:           8
        .value_kind:     global_buffer
      - .offset:         64
        .size:           4
        .value_kind:     by_value
      - .actual_access:  read_only
        .address_space:  global
        .offset:         72
        .size:           8
        .value_kind:     global_buffer
      - .offset:         80
        .size:           8
        .value_kind:     by_value
      - .address_space:  global
        .offset:         88
        .size:           8
        .value_kind:     global_buffer
      - .offset:         96
        .size:           4
        .value_kind:     by_value
      - .offset:         100
        .size:           1
        .value_kind:     by_value
    .group_segment_fixed_size: 0
    .kernarg_segment_align: 8
    .kernarg_segment_size: 104
    .language:       OpenCL C
    .language_version:
      - 2
      - 0
    .max_flat_workgroup_size: 64
    .name:           _ZN9rocsparseL22bsrxmvn_general_kernelILj64ELj8EfiiDF16_DF16_fEEv20rocsparse_direction_NS_24const_host_device_scalarIT1_EET3_PKS5_PKT2_SA_S7_PKT4_S5_PKT5_S4_PT6_21rocsparse_index_base_b
    .private_segment_fixed_size: 0
    .sgpr_count:     34
    .sgpr_spill_count: 0
    .symbol:         _ZN9rocsparseL22bsrxmvn_general_kernelILj64ELj8EfiiDF16_DF16_fEEv20rocsparse_direction_NS_24const_host_device_scalarIT1_EET3_PKS5_PKT2_SA_S7_PKT4_S5_PKT5_S4_PT6_21rocsparse_index_base_b.kd
    .uniform_work_group_size: 1
    .uses_dynamic_stack: false
    .vgpr_count:     21
    .vgpr_spill_count: 0
    .wavefront_size: 32
    .workgroup_processor_mode: 1
  - .args:
      - .offset:         0
        .size:           4
        .value_kind:     by_value
      - .offset:         8
        .size:           8
        .value_kind:     by_value
      - .offset:         16
        .size:           4
        .value_kind:     by_value
      - .actual_access:  read_only
        .address_space:  global
        .offset:         24
        .size:           8
        .value_kind:     global_buffer
      - .actual_access:  read_only
        .address_space:  global
        .offset:         32
        .size:           8
        .value_kind:     global_buffer
      - .actual_access:  read_only
        .address_space:  global
        .offset:         40
        .size:           8
        .value_kind:     global_buffer
      - .actual_access:  read_only
        .address_space:  global
        .offset:         48
        .size:           8
        .value_kind:     global_buffer
      - .actual_access:  read_only
        .address_space:  global
        .offset:         56
        .size:           8
        .value_kind:     global_buffer
      - .offset:         64
        .size:           4
        .value_kind:     by_value
      - .actual_access:  read_only
        .address_space:  global
        .offset:         72
        .size:           8
        .value_kind:     global_buffer
      - .offset:         80
        .size:           8
        .value_kind:     by_value
      - .address_space:  global
        .offset:         88
        .size:           8
        .value_kind:     global_buffer
      - .offset:         96
        .size:           4
        .value_kind:     by_value
      - .offset:         100
        .size:           1
        .value_kind:     by_value
    .group_segment_fixed_size: 0
    .kernarg_segment_align: 8
    .kernarg_segment_size: 104
    .language:       OpenCL C
    .language_version:
      - 2
      - 0
    .max_flat_workgroup_size: 256
    .name:           _ZN9rocsparseL22bsrxmvn_general_kernelILj256ELj16EfiiDF16_DF16_fEEv20rocsparse_direction_NS_24const_host_device_scalarIT1_EET3_PKS5_PKT2_SA_S7_PKT4_S5_PKT5_S4_PT6_21rocsparse_index_base_b
    .private_segment_fixed_size: 0
    .sgpr_count:     34
    .sgpr_spill_count: 0
    .symbol:         _ZN9rocsparseL22bsrxmvn_general_kernelILj256ELj16EfiiDF16_DF16_fEEv20rocsparse_direction_NS_24const_host_device_scalarIT1_EET3_PKS5_PKT2_SA_S7_PKT4_S5_PKT5_S4_PT6_21rocsparse_index_base_b.kd
    .uniform_work_group_size: 1
    .uses_dynamic_stack: false
    .vgpr_count:     22
    .vgpr_spill_count: 0
    .wavefront_size: 32
    .workgroup_processor_mode: 1
  - .args:
      - .offset:         0
        .size:           4
        .value_kind:     by_value
      - .offset:         8
        .size:           8
        .value_kind:     by_value
      - .offset:         16
        .size:           4
        .value_kind:     by_value
      - .actual_access:  read_only
        .address_space:  global
        .offset:         24
        .size:           8
        .value_kind:     global_buffer
      - .actual_access:  read_only
        .address_space:  global
        .offset:         32
        .size:           8
        .value_kind:     global_buffer
      - .actual_access:  read_only
        .address_space:  global
        .offset:         40
        .size:           8
        .value_kind:     global_buffer
      - .actual_access:  read_only
        .address_space:  global
        .offset:         48
        .size:           8
        .value_kind:     global_buffer
      - .actual_access:  read_only
        .address_space:  global
        .offset:         56
        .size:           8
        .value_kind:     global_buffer
      - .offset:         64
        .size:           4
        .value_kind:     by_value
      - .actual_access:  read_only
        .address_space:  global
        .offset:         72
        .size:           8
        .value_kind:     global_buffer
      - .offset:         80
        .size:           8
        .value_kind:     by_value
      - .address_space:  global
        .offset:         88
        .size:           8
        .value_kind:     global_buffer
      - .offset:         96
        .size:           4
        .value_kind:     by_value
      - .offset:         100
        .size:           1
        .value_kind:     by_value
    .group_segment_fixed_size: 0
    .kernarg_segment_align: 8
    .kernarg_segment_size: 104
    .language:       OpenCL C
    .language_version:
      - 2
      - 0
    .max_flat_workgroup_size: 1024
    .name:           _ZN9rocsparseL22bsrxmvn_general_kernelILj1024ELj32EfiiDF16_DF16_fEEv20rocsparse_direction_NS_24const_host_device_scalarIT1_EET3_PKS5_PKT2_SA_S7_PKT4_S5_PKT5_S4_PT6_21rocsparse_index_base_b
    .private_segment_fixed_size: 0
    .sgpr_count:     34
    .sgpr_spill_count: 0
    .symbol:         _ZN9rocsparseL22bsrxmvn_general_kernelILj1024ELj32EfiiDF16_DF16_fEEv20rocsparse_direction_NS_24const_host_device_scalarIT1_EET3_PKS5_PKT2_SA_S7_PKT4_S5_PKT5_S4_PT6_21rocsparse_index_base_b.kd
    .uniform_work_group_size: 1
    .uses_dynamic_stack: false
    .vgpr_count:     23
    .vgpr_spill_count: 0
    .wavefront_size: 32
    .workgroup_processor_mode: 1
  - .args:
      - .offset:         0
        .size:           4
        .value_kind:     by_value
      - .offset:         8
        .size:           8
        .value_kind:     by_value
      - .offset:         16
        .size:           4
        .value_kind:     by_value
      - .actual_access:  read_only
        .address_space:  global
        .offset:         24
        .size:           8
        .value_kind:     global_buffer
      - .actual_access:  read_only
        .address_space:  global
        .offset:         32
        .size:           8
        .value_kind:     global_buffer
      - .actual_access:  read_only
        .address_space:  global
        .offset:         40
        .size:           8
        .value_kind:     global_buffer
      - .actual_access:  read_only
        .address_space:  global
        .offset:         48
        .size:           8
        .value_kind:     global_buffer
      - .actual_access:  read_only
        .address_space:  global
        .offset:         56
        .size:           8
        .value_kind:     global_buffer
      - .offset:         64
        .size:           4
        .value_kind:     by_value
      - .actual_access:  read_only
        .address_space:  global
        .offset:         72
        .size:           8
        .value_kind:     global_buffer
      - .offset:         80
        .size:           8
        .value_kind:     by_value
      - .address_space:  global
        .offset:         88
        .size:           8
        .value_kind:     global_buffer
      - .offset:         96
        .size:           4
        .value_kind:     by_value
      - .offset:         100
        .size:           1
        .value_kind:     by_value
    .group_segment_fixed_size: 0
    .kernarg_segment_align: 8
    .kernarg_segment_size: 104
    .language:       OpenCL C
    .language_version:
      - 2
      - 0
    .max_flat_workgroup_size: 64
    .name:           _ZN9rocsparseL22bsrxmvn_general_kernelILj64ELj8EfliDF16_DF16_fEEv20rocsparse_direction_NS_24const_host_device_scalarIT1_EET3_PKS5_PKT2_SA_S7_PKT4_S5_PKT5_S4_PT6_21rocsparse_index_base_b
    .private_segment_fixed_size: 0
    .sgpr_count:     38
    .sgpr_spill_count: 0
    .symbol:         _ZN9rocsparseL22bsrxmvn_general_kernelILj64ELj8EfliDF16_DF16_fEEv20rocsparse_direction_NS_24const_host_device_scalarIT1_EET3_PKS5_PKT2_SA_S7_PKT4_S5_PKT5_S4_PT6_21rocsparse_index_base_b.kd
    .uniform_work_group_size: 1
    .uses_dynamic_stack: false
    .vgpr_count:     21
    .vgpr_spill_count: 0
    .wavefront_size: 32
    .workgroup_processor_mode: 1
  - .args:
      - .offset:         0
        .size:           4
        .value_kind:     by_value
      - .offset:         8
        .size:           8
        .value_kind:     by_value
      - .offset:         16
        .size:           4
        .value_kind:     by_value
      - .actual_access:  read_only
        .address_space:  global
        .offset:         24
        .size:           8
        .value_kind:     global_buffer
      - .actual_access:  read_only
        .address_space:  global
        .offset:         32
        .size:           8
        .value_kind:     global_buffer
      - .actual_access:  read_only
        .address_space:  global
        .offset:         40
        .size:           8
        .value_kind:     global_buffer
      - .actual_access:  read_only
        .address_space:  global
        .offset:         48
        .size:           8
        .value_kind:     global_buffer
      - .actual_access:  read_only
        .address_space:  global
        .offset:         56
        .size:           8
        .value_kind:     global_buffer
      - .offset:         64
        .size:           4
        .value_kind:     by_value
      - .actual_access:  read_only
        .address_space:  global
        .offset:         72
        .size:           8
        .value_kind:     global_buffer
      - .offset:         80
        .size:           8
        .value_kind:     by_value
      - .address_space:  global
        .offset:         88
        .size:           8
        .value_kind:     global_buffer
      - .offset:         96
        .size:           4
        .value_kind:     by_value
      - .offset:         100
        .size:           1
        .value_kind:     by_value
    .group_segment_fixed_size: 0
    .kernarg_segment_align: 8
    .kernarg_segment_size: 104
    .language:       OpenCL C
    .language_version:
      - 2
      - 0
    .max_flat_workgroup_size: 256
    .name:           _ZN9rocsparseL22bsrxmvn_general_kernelILj256ELj16EfliDF16_DF16_fEEv20rocsparse_direction_NS_24const_host_device_scalarIT1_EET3_PKS5_PKT2_SA_S7_PKT4_S5_PKT5_S4_PT6_21rocsparse_index_base_b
    .private_segment_fixed_size: 0
    .sgpr_count:     38
    .sgpr_spill_count: 0
    .symbol:         _ZN9rocsparseL22bsrxmvn_general_kernelILj256ELj16EfliDF16_DF16_fEEv20rocsparse_direction_NS_24const_host_device_scalarIT1_EET3_PKS5_PKT2_SA_S7_PKT4_S5_PKT5_S4_PT6_21rocsparse_index_base_b.kd
    .uniform_work_group_size: 1
    .uses_dynamic_stack: false
    .vgpr_count:     22
    .vgpr_spill_count: 0
    .wavefront_size: 32
    .workgroup_processor_mode: 1
  - .args:
      - .offset:         0
        .size:           4
        .value_kind:     by_value
      - .offset:         8
        .size:           8
        .value_kind:     by_value
      - .offset:         16
        .size:           4
        .value_kind:     by_value
      - .actual_access:  read_only
        .address_space:  global
        .offset:         24
        .size:           8
        .value_kind:     global_buffer
      - .actual_access:  read_only
        .address_space:  global
        .offset:         32
        .size:           8
        .value_kind:     global_buffer
      - .actual_access:  read_only
        .address_space:  global
        .offset:         40
        .size:           8
        .value_kind:     global_buffer
      - .actual_access:  read_only
        .address_space:  global
        .offset:         48
        .size:           8
        .value_kind:     global_buffer
      - .actual_access:  read_only
        .address_space:  global
        .offset:         56
        .size:           8
        .value_kind:     global_buffer
      - .offset:         64
        .size:           4
        .value_kind:     by_value
      - .actual_access:  read_only
        .address_space:  global
        .offset:         72
        .size:           8
        .value_kind:     global_buffer
      - .offset:         80
        .size:           8
        .value_kind:     by_value
      - .address_space:  global
        .offset:         88
        .size:           8
        .value_kind:     global_buffer
      - .offset:         96
        .size:           4
        .value_kind:     by_value
      - .offset:         100
        .size:           1
        .value_kind:     by_value
    .group_segment_fixed_size: 0
    .kernarg_segment_align: 8
    .kernarg_segment_size: 104
    .language:       OpenCL C
    .language_version:
      - 2
      - 0
    .max_flat_workgroup_size: 1024
    .name:           _ZN9rocsparseL22bsrxmvn_general_kernelILj1024ELj32EfliDF16_DF16_fEEv20rocsparse_direction_NS_24const_host_device_scalarIT1_EET3_PKS5_PKT2_SA_S7_PKT4_S5_PKT5_S4_PT6_21rocsparse_index_base_b
    .private_segment_fixed_size: 0
    .sgpr_count:     38
    .sgpr_spill_count: 0
    .symbol:         _ZN9rocsparseL22bsrxmvn_general_kernelILj1024ELj32EfliDF16_DF16_fEEv20rocsparse_direction_NS_24const_host_device_scalarIT1_EET3_PKS5_PKT2_SA_S7_PKT4_S5_PKT5_S4_PT6_21rocsparse_index_base_b.kd
    .uniform_work_group_size: 1
    .uses_dynamic_stack: false
    .vgpr_count:     23
    .vgpr_spill_count: 0
    .wavefront_size: 32
    .workgroup_processor_mode: 1
  - .args:
      - .offset:         0
        .size:           4
        .value_kind:     by_value
      - .offset:         8
        .size:           8
        .value_kind:     by_value
      - .offset:         16
        .size:           8
        .value_kind:     by_value
      - .actual_access:  read_only
        .address_space:  global
        .offset:         24
        .size:           8
        .value_kind:     global_buffer
      - .actual_access:  read_only
        .address_space:  global
        .offset:         32
        .size:           8
        .value_kind:     global_buffer
      - .actual_access:  read_only
        .address_space:  global
        .offset:         40
        .size:           8
        .value_kind:     global_buffer
      - .actual_access:  read_only
        .address_space:  global
        .offset:         48
        .size:           8
        .value_kind:     global_buffer
      - .actual_access:  read_only
        .address_space:  global
        .offset:         56
        .size:           8
        .value_kind:     global_buffer
      - .offset:         64
        .size:           8
        .value_kind:     by_value
      - .actual_access:  read_only
        .address_space:  global
        .offset:         72
        .size:           8
        .value_kind:     global_buffer
      - .offset:         80
        .size:           8
        .value_kind:     by_value
      - .address_space:  global
        .offset:         88
        .size:           8
        .value_kind:     global_buffer
      - .offset:         96
        .size:           4
        .value_kind:     by_value
      - .offset:         100
        .size:           1
        .value_kind:     by_value
    .group_segment_fixed_size: 0
    .kernarg_segment_align: 8
    .kernarg_segment_size: 104
    .language:       OpenCL C
    .language_version:
      - 2
      - 0
    .max_flat_workgroup_size: 64
    .name:           _ZN9rocsparseL22bsrxmvn_general_kernelILj64ELj8EfllDF16_DF16_fEEv20rocsparse_direction_NS_24const_host_device_scalarIT1_EET3_PKS5_PKT2_SA_S7_PKT4_S5_PKT5_S4_PT6_21rocsparse_index_base_b
    .private_segment_fixed_size: 0
    .sgpr_count:     39
    .sgpr_spill_count: 0
    .symbol:         _ZN9rocsparseL22bsrxmvn_general_kernelILj64ELj8EfllDF16_DF16_fEEv20rocsparse_direction_NS_24const_host_device_scalarIT1_EET3_PKS5_PKT2_SA_S7_PKT4_S5_PKT5_S4_PT6_21rocsparse_index_base_b.kd
    .uniform_work_group_size: 1
    .uses_dynamic_stack: false
    .vgpr_count:     22
    .vgpr_spill_count: 0
    .wavefront_size: 32
    .workgroup_processor_mode: 1
  - .args:
      - .offset:         0
        .size:           4
        .value_kind:     by_value
      - .offset:         8
        .size:           8
        .value_kind:     by_value
      - .offset:         16
        .size:           8
        .value_kind:     by_value
      - .actual_access:  read_only
        .address_space:  global
        .offset:         24
        .size:           8
        .value_kind:     global_buffer
      - .actual_access:  read_only
        .address_space:  global
        .offset:         32
        .size:           8
        .value_kind:     global_buffer
      - .actual_access:  read_only
        .address_space:  global
        .offset:         40
        .size:           8
        .value_kind:     global_buffer
      - .actual_access:  read_only
        .address_space:  global
        .offset:         48
        .size:           8
        .value_kind:     global_buffer
      - .actual_access:  read_only
        .address_space:  global
        .offset:         56
        .size:           8
        .value_kind:     global_buffer
      - .offset:         64
        .size:           8
        .value_kind:     by_value
      - .actual_access:  read_only
        .address_space:  global
        .offset:         72
        .size:           8
        .value_kind:     global_buffer
      - .offset:         80
        .size:           8
        .value_kind:     by_value
      - .address_space:  global
        .offset:         88
        .size:           8
        .value_kind:     global_buffer
      - .offset:         96
        .size:           4
        .value_kind:     by_value
      - .offset:         100
        .size:           1
        .value_kind:     by_value
    .group_segment_fixed_size: 0
    .kernarg_segment_align: 8
    .kernarg_segment_size: 104
    .language:       OpenCL C
    .language_version:
      - 2
      - 0
    .max_flat_workgroup_size: 256
    .name:           _ZN9rocsparseL22bsrxmvn_general_kernelILj256ELj16EfllDF16_DF16_fEEv20rocsparse_direction_NS_24const_host_device_scalarIT1_EET3_PKS5_PKT2_SA_S7_PKT4_S5_PKT5_S4_PT6_21rocsparse_index_base_b
    .private_segment_fixed_size: 0
    .sgpr_count:     39
    .sgpr_spill_count: 0
    .symbol:         _ZN9rocsparseL22bsrxmvn_general_kernelILj256ELj16EfllDF16_DF16_fEEv20rocsparse_direction_NS_24const_host_device_scalarIT1_EET3_PKS5_PKT2_SA_S7_PKT4_S5_PKT5_S4_PT6_21rocsparse_index_base_b.kd
    .uniform_work_group_size: 1
    .uses_dynamic_stack: false
    .vgpr_count:     23
    .vgpr_spill_count: 0
    .wavefront_size: 32
    .workgroup_processor_mode: 1
  - .args:
      - .offset:         0
        .size:           4
        .value_kind:     by_value
      - .offset:         8
        .size:           8
        .value_kind:     by_value
      - .offset:         16
        .size:           8
        .value_kind:     by_value
      - .actual_access:  read_only
        .address_space:  global
        .offset:         24
        .size:           8
        .value_kind:     global_buffer
      - .actual_access:  read_only
        .address_space:  global
        .offset:         32
        .size:           8
        .value_kind:     global_buffer
      - .actual_access:  read_only
        .address_space:  global
        .offset:         40
        .size:           8
        .value_kind:     global_buffer
      - .actual_access:  read_only
        .address_space:  global
        .offset:         48
        .size:           8
        .value_kind:     global_buffer
      - .actual_access:  read_only
        .address_space:  global
        .offset:         56
        .size:           8
        .value_kind:     global_buffer
      - .offset:         64
        .size:           8
        .value_kind:     by_value
      - .actual_access:  read_only
        .address_space:  global
        .offset:         72
        .size:           8
        .value_kind:     global_buffer
      - .offset:         80
        .size:           8
        .value_kind:     by_value
      - .address_space:  global
        .offset:         88
        .size:           8
        .value_kind:     global_buffer
      - .offset:         96
        .size:           4
        .value_kind:     by_value
      - .offset:         100
        .size:           1
        .value_kind:     by_value
    .group_segment_fixed_size: 0
    .kernarg_segment_align: 8
    .kernarg_segment_size: 104
    .language:       OpenCL C
    .language_version:
      - 2
      - 0
    .max_flat_workgroup_size: 1024
    .name:           _ZN9rocsparseL22bsrxmvn_general_kernelILj1024ELj32EfllDF16_DF16_fEEv20rocsparse_direction_NS_24const_host_device_scalarIT1_EET3_PKS5_PKT2_SA_S7_PKT4_S5_PKT5_S4_PT6_21rocsparse_index_base_b
    .private_segment_fixed_size: 0
    .sgpr_count:     39
    .sgpr_spill_count: 0
    .symbol:         _ZN9rocsparseL22bsrxmvn_general_kernelILj1024ELj32EfllDF16_DF16_fEEv20rocsparse_direction_NS_24const_host_device_scalarIT1_EET3_PKS5_PKT2_SA_S7_PKT4_S5_PKT5_S4_PT6_21rocsparse_index_base_b.kd
    .uniform_work_group_size: 1
    .uses_dynamic_stack: false
    .vgpr_count:     24
    .vgpr_spill_count: 0
    .wavefront_size: 32
    .workgroup_processor_mode: 1
  - .args:
      - .offset:         0
        .size:           4
        .value_kind:     by_value
      - .offset:         8
        .size:           8
        .value_kind:     by_value
      - .offset:         16
        .size:           4
        .value_kind:     by_value
      - .actual_access:  read_only
        .address_space:  global
        .offset:         24
        .size:           8
        .value_kind:     global_buffer
      - .actual_access:  read_only
        .address_space:  global
        .offset:         32
        .size:           8
        .value_kind:     global_buffer
      - .actual_access:  read_only
        .address_space:  global
        .offset:         40
        .size:           8
        .value_kind:     global_buffer
      - .actual_access:  read_only
        .address_space:  global
        .offset:         48
        .size:           8
        .value_kind:     global_buffer
      - .actual_access:  read_only
        .address_space:  global
        .offset:         56
        .size:           8
        .value_kind:     global_buffer
      - .offset:         64
        .size:           4
        .value_kind:     by_value
      - .actual_access:  read_only
        .address_space:  global
        .offset:         72
        .size:           8
        .value_kind:     global_buffer
      - .offset:         80
        .size:           8
        .value_kind:     by_value
      - .address_space:  global
        .offset:         88
        .size:           8
        .value_kind:     global_buffer
      - .offset:         96
        .size:           4
        .value_kind:     by_value
      - .offset:         100
        .size:           1
        .value_kind:     by_value
    .group_segment_fixed_size: 0
    .kernarg_segment_align: 8
    .kernarg_segment_size: 104
    .language:       OpenCL C
    .language_version:
      - 2
      - 0
    .max_flat_workgroup_size: 64
    .name:           _ZN9rocsparseL22bsrxmvn_general_kernelILj64ELj8Efii18rocsparse_bfloat16S1_fEEv20rocsparse_direction_NS_24const_host_device_scalarIT1_EET3_PKS6_PKT2_SB_S8_PKT4_S6_PKT5_S5_PT6_21rocsparse_index_base_b
    .private_segment_fixed_size: 0
    .sgpr_count:     34
    .sgpr_spill_count: 0
    .symbol:         _ZN9rocsparseL22bsrxmvn_general_kernelILj64ELj8Efii18rocsparse_bfloat16S1_fEEv20rocsparse_direction_NS_24const_host_device_scalarIT1_EET3_PKS6_PKT2_SB_S8_PKT4_S6_PKT5_S5_PT6_21rocsparse_index_base_b.kd
    .uniform_work_group_size: 1
    .uses_dynamic_stack: false
    .vgpr_count:     21
    .vgpr_spill_count: 0
    .wavefront_size: 32
    .workgroup_processor_mode: 1
  - .args:
      - .offset:         0
        .size:           4
        .value_kind:     by_value
      - .offset:         8
        .size:           8
        .value_kind:     by_value
      - .offset:         16
        .size:           4
        .value_kind:     by_value
      - .actual_access:  read_only
        .address_space:  global
        .offset:         24
        .size:           8
        .value_kind:     global_buffer
      - .actual_access:  read_only
        .address_space:  global
        .offset:         32
        .size:           8
        .value_kind:     global_buffer
      - .actual_access:  read_only
        .address_space:  global
        .offset:         40
        .size:           8
        .value_kind:     global_buffer
      - .actual_access:  read_only
        .address_space:  global
        .offset:         48
        .size:           8
        .value_kind:     global_buffer
      - .actual_access:  read_only
        .address_space:  global
        .offset:         56
        .size:           8
        .value_kind:     global_buffer
      - .offset:         64
        .size:           4
        .value_kind:     by_value
      - .actual_access:  read_only
        .address_space:  global
        .offset:         72
        .size:           8
        .value_kind:     global_buffer
      - .offset:         80
        .size:           8
        .value_kind:     by_value
      - .address_space:  global
        .offset:         88
        .size:           8
        .value_kind:     global_buffer
      - .offset:         96
        .size:           4
        .value_kind:     by_value
      - .offset:         100
        .size:           1
        .value_kind:     by_value
    .group_segment_fixed_size: 0
    .kernarg_segment_align: 8
    .kernarg_segment_size: 104
    .language:       OpenCL C
    .language_version:
      - 2
      - 0
    .max_flat_workgroup_size: 256
    .name:           _ZN9rocsparseL22bsrxmvn_general_kernelILj256ELj16Efii18rocsparse_bfloat16S1_fEEv20rocsparse_direction_NS_24const_host_device_scalarIT1_EET3_PKS6_PKT2_SB_S8_PKT4_S6_PKT5_S5_PT6_21rocsparse_index_base_b
    .private_segment_fixed_size: 0
    .sgpr_count:     34
    .sgpr_spill_count: 0
    .symbol:         _ZN9rocsparseL22bsrxmvn_general_kernelILj256ELj16Efii18rocsparse_bfloat16S1_fEEv20rocsparse_direction_NS_24const_host_device_scalarIT1_EET3_PKS6_PKT2_SB_S8_PKT4_S6_PKT5_S5_PT6_21rocsparse_index_base_b.kd
    .uniform_work_group_size: 1
    .uses_dynamic_stack: false
    .vgpr_count:     22
    .vgpr_spill_count: 0
    .wavefront_size: 32
    .workgroup_processor_mode: 1
  - .args:
      - .offset:         0
        .size:           4
        .value_kind:     by_value
      - .offset:         8
        .size:           8
        .value_kind:     by_value
      - .offset:         16
        .size:           4
        .value_kind:     by_value
      - .actual_access:  read_only
        .address_space:  global
        .offset:         24
        .size:           8
        .value_kind:     global_buffer
      - .actual_access:  read_only
        .address_space:  global
        .offset:         32
        .size:           8
        .value_kind:     global_buffer
      - .actual_access:  read_only
        .address_space:  global
        .offset:         40
        .size:           8
        .value_kind:     global_buffer
      - .actual_access:  read_only
        .address_space:  global
        .offset:         48
        .size:           8
        .value_kind:     global_buffer
      - .actual_access:  read_only
        .address_space:  global
        .offset:         56
        .size:           8
        .value_kind:     global_buffer
      - .offset:         64
        .size:           4
        .value_kind:     by_value
      - .actual_access:  read_only
        .address_space:  global
        .offset:         72
        .size:           8
        .value_kind:     global_buffer
      - .offset:         80
        .size:           8
        .value_kind:     by_value
      - .address_space:  global
        .offset:         88
        .size:           8
        .value_kind:     global_buffer
      - .offset:         96
        .size:           4
        .value_kind:     by_value
      - .offset:         100
        .size:           1
        .value_kind:     by_value
    .group_segment_fixed_size: 0
    .kernarg_segment_align: 8
    .kernarg_segment_size: 104
    .language:       OpenCL C
    .language_version:
      - 2
      - 0
    .max_flat_workgroup_size: 1024
    .name:           _ZN9rocsparseL22bsrxmvn_general_kernelILj1024ELj32Efii18rocsparse_bfloat16S1_fEEv20rocsparse_direction_NS_24const_host_device_scalarIT1_EET3_PKS6_PKT2_SB_S8_PKT4_S6_PKT5_S5_PT6_21rocsparse_index_base_b
    .private_segment_fixed_size: 0
    .sgpr_count:     34
    .sgpr_spill_count: 0
    .symbol:         _ZN9rocsparseL22bsrxmvn_general_kernelILj1024ELj32Efii18rocsparse_bfloat16S1_fEEv20rocsparse_direction_NS_24const_host_device_scalarIT1_EET3_PKS6_PKT2_SB_S8_PKT4_S6_PKT5_S5_PT6_21rocsparse_index_base_b.kd
    .uniform_work_group_size: 1
    .uses_dynamic_stack: false
    .vgpr_count:     23
    .vgpr_spill_count: 0
    .wavefront_size: 32
    .workgroup_processor_mode: 1
  - .args:
      - .offset:         0
        .size:           4
        .value_kind:     by_value
      - .offset:         8
        .size:           8
        .value_kind:     by_value
      - .offset:         16
        .size:           4
        .value_kind:     by_value
      - .actual_access:  read_only
        .address_space:  global
        .offset:         24
        .size:           8
        .value_kind:     global_buffer
      - .actual_access:  read_only
        .address_space:  global
        .offset:         32
        .size:           8
        .value_kind:     global_buffer
      - .actual_access:  read_only
        .address_space:  global
        .offset:         40
        .size:           8
        .value_kind:     global_buffer
      - .actual_access:  read_only
        .address_space:  global
        .offset:         48
        .size:           8
        .value_kind:     global_buffer
      - .actual_access:  read_only
        .address_space:  global
        .offset:         56
        .size:           8
        .value_kind:     global_buffer
      - .offset:         64
        .size:           4
        .value_kind:     by_value
      - .actual_access:  read_only
        .address_space:  global
        .offset:         72
        .size:           8
        .value_kind:     global_buffer
      - .offset:         80
        .size:           8
        .value_kind:     by_value
      - .address_space:  global
        .offset:         88
        .size:           8
        .value_kind:     global_buffer
      - .offset:         96
        .size:           4
        .value_kind:     by_value
      - .offset:         100
        .size:           1
        .value_kind:     by_value
    .group_segment_fixed_size: 0
    .kernarg_segment_align: 8
    .kernarg_segment_size: 104
    .language:       OpenCL C
    .language_version:
      - 2
      - 0
    .max_flat_workgroup_size: 64
    .name:           _ZN9rocsparseL22bsrxmvn_general_kernelILj64ELj8Efli18rocsparse_bfloat16S1_fEEv20rocsparse_direction_NS_24const_host_device_scalarIT1_EET3_PKS6_PKT2_SB_S8_PKT4_S6_PKT5_S5_PT6_21rocsparse_index_base_b
    .private_segment_fixed_size: 0
    .sgpr_count:     38
    .sgpr_spill_count: 0
    .symbol:         _ZN9rocsparseL22bsrxmvn_general_kernelILj64ELj8Efli18rocsparse_bfloat16S1_fEEv20rocsparse_direction_NS_24const_host_device_scalarIT1_EET3_PKS6_PKT2_SB_S8_PKT4_S6_PKT5_S5_PT6_21rocsparse_index_base_b.kd
    .uniform_work_group_size: 1
    .uses_dynamic_stack: false
    .vgpr_count:     21
    .vgpr_spill_count: 0
    .wavefront_size: 32
    .workgroup_processor_mode: 1
  - .args:
      - .offset:         0
        .size:           4
        .value_kind:     by_value
      - .offset:         8
        .size:           8
        .value_kind:     by_value
      - .offset:         16
        .size:           4
        .value_kind:     by_value
      - .actual_access:  read_only
        .address_space:  global
        .offset:         24
        .size:           8
        .value_kind:     global_buffer
      - .actual_access:  read_only
        .address_space:  global
        .offset:         32
        .size:           8
        .value_kind:     global_buffer
      - .actual_access:  read_only
        .address_space:  global
        .offset:         40
        .size:           8
        .value_kind:     global_buffer
      - .actual_access:  read_only
        .address_space:  global
        .offset:         48
        .size:           8
        .value_kind:     global_buffer
      - .actual_access:  read_only
        .address_space:  global
        .offset:         56
        .size:           8
        .value_kind:     global_buffer
      - .offset:         64
        .size:           4
        .value_kind:     by_value
      - .actual_access:  read_only
        .address_space:  global
        .offset:         72
        .size:           8
        .value_kind:     global_buffer
      - .offset:         80
        .size:           8
        .value_kind:     by_value
      - .address_space:  global
        .offset:         88
        .size:           8
        .value_kind:     global_buffer
      - .offset:         96
        .size:           4
        .value_kind:     by_value
      - .offset:         100
        .size:           1
        .value_kind:     by_value
    .group_segment_fixed_size: 0
    .kernarg_segment_align: 8
    .kernarg_segment_size: 104
    .language:       OpenCL C
    .language_version:
      - 2
      - 0
    .max_flat_workgroup_size: 256
    .name:           _ZN9rocsparseL22bsrxmvn_general_kernelILj256ELj16Efli18rocsparse_bfloat16S1_fEEv20rocsparse_direction_NS_24const_host_device_scalarIT1_EET3_PKS6_PKT2_SB_S8_PKT4_S6_PKT5_S5_PT6_21rocsparse_index_base_b
    .private_segment_fixed_size: 0
    .sgpr_count:     38
    .sgpr_spill_count: 0
    .symbol:         _ZN9rocsparseL22bsrxmvn_general_kernelILj256ELj16Efli18rocsparse_bfloat16S1_fEEv20rocsparse_direction_NS_24const_host_device_scalarIT1_EET3_PKS6_PKT2_SB_S8_PKT4_S6_PKT5_S5_PT6_21rocsparse_index_base_b.kd
    .uniform_work_group_size: 1
    .uses_dynamic_stack: false
    .vgpr_count:     22
    .vgpr_spill_count: 0
    .wavefront_size: 32
    .workgroup_processor_mode: 1
  - .args:
      - .offset:         0
        .size:           4
        .value_kind:     by_value
      - .offset:         8
        .size:           8
        .value_kind:     by_value
      - .offset:         16
        .size:           4
        .value_kind:     by_value
      - .actual_access:  read_only
        .address_space:  global
        .offset:         24
        .size:           8
        .value_kind:     global_buffer
      - .actual_access:  read_only
        .address_space:  global
        .offset:         32
        .size:           8
        .value_kind:     global_buffer
      - .actual_access:  read_only
        .address_space:  global
        .offset:         40
        .size:           8
        .value_kind:     global_buffer
      - .actual_access:  read_only
        .address_space:  global
        .offset:         48
        .size:           8
        .value_kind:     global_buffer
      - .actual_access:  read_only
        .address_space:  global
        .offset:         56
        .size:           8
        .value_kind:     global_buffer
      - .offset:         64
        .size:           4
        .value_kind:     by_value
      - .actual_access:  read_only
        .address_space:  global
        .offset:         72
        .size:           8
        .value_kind:     global_buffer
      - .offset:         80
        .size:           8
        .value_kind:     by_value
      - .address_space:  global
        .offset:         88
        .size:           8
        .value_kind:     global_buffer
      - .offset:         96
        .size:           4
        .value_kind:     by_value
      - .offset:         100
        .size:           1
        .value_kind:     by_value
    .group_segment_fixed_size: 0
    .kernarg_segment_align: 8
    .kernarg_segment_size: 104
    .language:       OpenCL C
    .language_version:
      - 2
      - 0
    .max_flat_workgroup_size: 1024
    .name:           _ZN9rocsparseL22bsrxmvn_general_kernelILj1024ELj32Efli18rocsparse_bfloat16S1_fEEv20rocsparse_direction_NS_24const_host_device_scalarIT1_EET3_PKS6_PKT2_SB_S8_PKT4_S6_PKT5_S5_PT6_21rocsparse_index_base_b
    .private_segment_fixed_size: 0
    .sgpr_count:     38
    .sgpr_spill_count: 0
    .symbol:         _ZN9rocsparseL22bsrxmvn_general_kernelILj1024ELj32Efli18rocsparse_bfloat16S1_fEEv20rocsparse_direction_NS_24const_host_device_scalarIT1_EET3_PKS6_PKT2_SB_S8_PKT4_S6_PKT5_S5_PT6_21rocsparse_index_base_b.kd
    .uniform_work_group_size: 1
    .uses_dynamic_stack: false
    .vgpr_count:     23
    .vgpr_spill_count: 0
    .wavefront_size: 32
    .workgroup_processor_mode: 1
  - .args:
      - .offset:         0
        .size:           4
        .value_kind:     by_value
      - .offset:         8
        .size:           8
        .value_kind:     by_value
      - .offset:         16
        .size:           8
        .value_kind:     by_value
      - .actual_access:  read_only
        .address_space:  global
        .offset:         24
        .size:           8
        .value_kind:     global_buffer
      - .actual_access:  read_only
        .address_space:  global
        .offset:         32
        .size:           8
        .value_kind:     global_buffer
      - .actual_access:  read_only
        .address_space:  global
        .offset:         40
        .size:           8
        .value_kind:     global_buffer
      - .actual_access:  read_only
        .address_space:  global
        .offset:         48
        .size:           8
        .value_kind:     global_buffer
      - .actual_access:  read_only
        .address_space:  global
        .offset:         56
        .size:           8
        .value_kind:     global_buffer
      - .offset:         64
        .size:           8
        .value_kind:     by_value
      - .actual_access:  read_only
        .address_space:  global
        .offset:         72
        .size:           8
        .value_kind:     global_buffer
      - .offset:         80
        .size:           8
        .value_kind:     by_value
      - .address_space:  global
        .offset:         88
        .size:           8
        .value_kind:     global_buffer
      - .offset:         96
        .size:           4
        .value_kind:     by_value
      - .offset:         100
        .size:           1
        .value_kind:     by_value
    .group_segment_fixed_size: 0
    .kernarg_segment_align: 8
    .kernarg_segment_size: 104
    .language:       OpenCL C
    .language_version:
      - 2
      - 0
    .max_flat_workgroup_size: 64
    .name:           _ZN9rocsparseL22bsrxmvn_general_kernelILj64ELj8Efll18rocsparse_bfloat16S1_fEEv20rocsparse_direction_NS_24const_host_device_scalarIT1_EET3_PKS6_PKT2_SB_S8_PKT4_S6_PKT5_S5_PT6_21rocsparse_index_base_b
    .private_segment_fixed_size: 0
    .sgpr_count:     39
    .sgpr_spill_count: 0
    .symbol:         _ZN9rocsparseL22bsrxmvn_general_kernelILj64ELj8Efll18rocsparse_bfloat16S1_fEEv20rocsparse_direction_NS_24const_host_device_scalarIT1_EET3_PKS6_PKT2_SB_S8_PKT4_S6_PKT5_S5_PT6_21rocsparse_index_base_b.kd
    .uniform_work_group_size: 1
    .uses_dynamic_stack: false
    .vgpr_count:     22
    .vgpr_spill_count: 0
    .wavefront_size: 32
    .workgroup_processor_mode: 1
  - .args:
      - .offset:         0
        .size:           4
        .value_kind:     by_value
      - .offset:         8
        .size:           8
        .value_kind:     by_value
      - .offset:         16
        .size:           8
        .value_kind:     by_value
      - .actual_access:  read_only
        .address_space:  global
        .offset:         24
        .size:           8
        .value_kind:     global_buffer
      - .actual_access:  read_only
        .address_space:  global
        .offset:         32
        .size:           8
        .value_kind:     global_buffer
      - .actual_access:  read_only
        .address_space:  global
        .offset:         40
        .size:           8
        .value_kind:     global_buffer
      - .actual_access:  read_only
        .address_space:  global
        .offset:         48
        .size:           8
        .value_kind:     global_buffer
      - .actual_access:  read_only
        .address_space:  global
        .offset:         56
        .size:           8
        .value_kind:     global_buffer
      - .offset:         64
        .size:           8
        .value_kind:     by_value
      - .actual_access:  read_only
        .address_space:  global
        .offset:         72
        .size:           8
        .value_kind:     global_buffer
      - .offset:         80
        .size:           8
        .value_kind:     by_value
      - .address_space:  global
        .offset:         88
        .size:           8
        .value_kind:     global_buffer
      - .offset:         96
        .size:           4
        .value_kind:     by_value
      - .offset:         100
        .size:           1
        .value_kind:     by_value
    .group_segment_fixed_size: 0
    .kernarg_segment_align: 8
    .kernarg_segment_size: 104
    .language:       OpenCL C
    .language_version:
      - 2
      - 0
    .max_flat_workgroup_size: 256
    .name:           _ZN9rocsparseL22bsrxmvn_general_kernelILj256ELj16Efll18rocsparse_bfloat16S1_fEEv20rocsparse_direction_NS_24const_host_device_scalarIT1_EET3_PKS6_PKT2_SB_S8_PKT4_S6_PKT5_S5_PT6_21rocsparse_index_base_b
    .private_segment_fixed_size: 0
    .sgpr_count:     39
    .sgpr_spill_count: 0
    .symbol:         _ZN9rocsparseL22bsrxmvn_general_kernelILj256ELj16Efll18rocsparse_bfloat16S1_fEEv20rocsparse_direction_NS_24const_host_device_scalarIT1_EET3_PKS6_PKT2_SB_S8_PKT4_S6_PKT5_S5_PT6_21rocsparse_index_base_b.kd
    .uniform_work_group_size: 1
    .uses_dynamic_stack: false
    .vgpr_count:     23
    .vgpr_spill_count: 0
    .wavefront_size: 32
    .workgroup_processor_mode: 1
  - .args:
      - .offset:         0
        .size:           4
        .value_kind:     by_value
      - .offset:         8
        .size:           8
        .value_kind:     by_value
      - .offset:         16
        .size:           8
        .value_kind:     by_value
      - .actual_access:  read_only
        .address_space:  global
        .offset:         24
        .size:           8
        .value_kind:     global_buffer
      - .actual_access:  read_only
        .address_space:  global
        .offset:         32
        .size:           8
        .value_kind:     global_buffer
      - .actual_access:  read_only
        .address_space:  global
        .offset:         40
        .size:           8
        .value_kind:     global_buffer
      - .actual_access:  read_only
        .address_space:  global
        .offset:         48
        .size:           8
        .value_kind:     global_buffer
      - .actual_access:  read_only
        .address_space:  global
        .offset:         56
        .size:           8
        .value_kind:     global_buffer
      - .offset:         64
        .size:           8
        .value_kind:     by_value
      - .actual_access:  read_only
        .address_space:  global
        .offset:         72
        .size:           8
        .value_kind:     global_buffer
      - .offset:         80
        .size:           8
        .value_kind:     by_value
      - .address_space:  global
        .offset:         88
        .size:           8
        .value_kind:     global_buffer
      - .offset:         96
        .size:           4
        .value_kind:     by_value
      - .offset:         100
        .size:           1
        .value_kind:     by_value
    .group_segment_fixed_size: 0
    .kernarg_segment_align: 8
    .kernarg_segment_size: 104
    .language:       OpenCL C
    .language_version:
      - 2
      - 0
    .max_flat_workgroup_size: 1024
    .name:           _ZN9rocsparseL22bsrxmvn_general_kernelILj1024ELj32Efll18rocsparse_bfloat16S1_fEEv20rocsparse_direction_NS_24const_host_device_scalarIT1_EET3_PKS6_PKT2_SB_S8_PKT4_S6_PKT5_S5_PT6_21rocsparse_index_base_b
    .private_segment_fixed_size: 0
    .sgpr_count:     39
    .sgpr_spill_count: 0
    .symbol:         _ZN9rocsparseL22bsrxmvn_general_kernelILj1024ELj32Efll18rocsparse_bfloat16S1_fEEv20rocsparse_direction_NS_24const_host_device_scalarIT1_EET3_PKS6_PKT2_SB_S8_PKT4_S6_PKT5_S5_PT6_21rocsparse_index_base_b.kd
    .uniform_work_group_size: 1
    .uses_dynamic_stack: false
    .vgpr_count:     24
    .vgpr_spill_count: 0
    .wavefront_size: 32
    .workgroup_processor_mode: 1
  - .args:
      - .offset:         0
        .size:           4
        .value_kind:     by_value
      - .offset:         8
        .size:           8
        .value_kind:     by_value
      - .offset:         16
        .size:           4
        .value_kind:     by_value
      - .actual_access:  read_only
        .address_space:  global
        .offset:         24
        .size:           8
        .value_kind:     global_buffer
      - .actual_access:  read_only
        .address_space:  global
        .offset:         32
        .size:           8
        .value_kind:     global_buffer
      - .actual_access:  read_only
        .address_space:  global
        .offset:         40
        .size:           8
        .value_kind:     global_buffer
      - .actual_access:  read_only
        .address_space:  global
        .offset:         48
        .size:           8
        .value_kind:     global_buffer
      - .actual_access:  read_only
        .address_space:  global
        .offset:         56
        .size:           8
        .value_kind:     global_buffer
      - .offset:         64
        .size:           4
        .value_kind:     by_value
      - .actual_access:  read_only
        .address_space:  global
        .offset:         72
        .size:           8
        .value_kind:     global_buffer
      - .offset:         80
        .size:           8
        .value_kind:     by_value
      - .address_space:  global
        .offset:         88
        .size:           8
        .value_kind:     global_buffer
      - .offset:         96
        .size:           4
        .value_kind:     by_value
      - .offset:         100
        .size:           1
        .value_kind:     by_value
    .group_segment_fixed_size: 0
    .kernarg_segment_align: 8
    .kernarg_segment_size: 104
    .language:       OpenCL C
    .language_version:
      - 2
      - 0
    .max_flat_workgroup_size: 64
    .name:           _ZN9rocsparseL22bsrxmvn_general_kernelILj64ELj8E21rocsparse_complex_numIfEiifS2_S2_EEv20rocsparse_direction_NS_24const_host_device_scalarIT1_EET3_PKS7_PKT2_SC_S9_PKT4_S7_PKT5_S6_PT6_21rocsparse_index_base_b
    .private_segment_fixed_size: 0
    .sgpr_count:     32
    .sgpr_spill_count: 0
    .symbol:         _ZN9rocsparseL22bsrxmvn_general_kernelILj64ELj8E21rocsparse_complex_numIfEiifS2_S2_EEv20rocsparse_direction_NS_24const_host_device_scalarIT1_EET3_PKS7_PKT2_SC_S9_PKT4_S7_PKT5_S6_PT6_21rocsparse_index_base_b.kd
    .uniform_work_group_size: 1
    .uses_dynamic_stack: false
    .vgpr_count:     27
    .vgpr_spill_count: 0
    .wavefront_size: 32
    .workgroup_processor_mode: 1
  - .args:
      - .offset:         0
        .size:           4
        .value_kind:     by_value
      - .offset:         8
        .size:           8
        .value_kind:     by_value
      - .offset:         16
        .size:           4
        .value_kind:     by_value
      - .actual_access:  read_only
        .address_space:  global
        .offset:         24
        .size:           8
        .value_kind:     global_buffer
      - .actual_access:  read_only
        .address_space:  global
        .offset:         32
        .size:           8
        .value_kind:     global_buffer
      - .actual_access:  read_only
        .address_space:  global
        .offset:         40
        .size:           8
        .value_kind:     global_buffer
      - .actual_access:  read_only
        .address_space:  global
        .offset:         48
        .size:           8
        .value_kind:     global_buffer
      - .actual_access:  read_only
        .address_space:  global
        .offset:         56
        .size:           8
        .value_kind:     global_buffer
      - .offset:         64
        .size:           4
        .value_kind:     by_value
      - .actual_access:  read_only
        .address_space:  global
        .offset:         72
        .size:           8
        .value_kind:     global_buffer
      - .offset:         80
        .size:           8
        .value_kind:     by_value
      - .address_space:  global
        .offset:         88
        .size:           8
        .value_kind:     global_buffer
      - .offset:         96
        .size:           4
        .value_kind:     by_value
      - .offset:         100
        .size:           1
        .value_kind:     by_value
    .group_segment_fixed_size: 0
    .kernarg_segment_align: 8
    .kernarg_segment_size: 104
    .language:       OpenCL C
    .language_version:
      - 2
      - 0
    .max_flat_workgroup_size: 256
    .name:           _ZN9rocsparseL22bsrxmvn_general_kernelILj256ELj16E21rocsparse_complex_numIfEiifS2_S2_EEv20rocsparse_direction_NS_24const_host_device_scalarIT1_EET3_PKS7_PKT2_SC_S9_PKT4_S7_PKT5_S6_PT6_21rocsparse_index_base_b
    .private_segment_fixed_size: 0
    .sgpr_count:     32
    .sgpr_spill_count: 0
    .symbol:         _ZN9rocsparseL22bsrxmvn_general_kernelILj256ELj16E21rocsparse_complex_numIfEiifS2_S2_EEv20rocsparse_direction_NS_24const_host_device_scalarIT1_EET3_PKS7_PKT2_SC_S9_PKT4_S7_PKT5_S6_PT6_21rocsparse_index_base_b.kd
    .uniform_work_group_size: 1
    .uses_dynamic_stack: false
    .vgpr_count:     28
    .vgpr_spill_count: 0
    .wavefront_size: 32
    .workgroup_processor_mode: 1
  - .args:
      - .offset:         0
        .size:           4
        .value_kind:     by_value
      - .offset:         8
        .size:           8
        .value_kind:     by_value
      - .offset:         16
        .size:           4
        .value_kind:     by_value
      - .actual_access:  read_only
        .address_space:  global
        .offset:         24
        .size:           8
        .value_kind:     global_buffer
      - .actual_access:  read_only
        .address_space:  global
        .offset:         32
        .size:           8
        .value_kind:     global_buffer
      - .actual_access:  read_only
        .address_space:  global
        .offset:         40
        .size:           8
        .value_kind:     global_buffer
      - .actual_access:  read_only
        .address_space:  global
        .offset:         48
        .size:           8
        .value_kind:     global_buffer
      - .actual_access:  read_only
        .address_space:  global
        .offset:         56
        .size:           8
        .value_kind:     global_buffer
      - .offset:         64
        .size:           4
        .value_kind:     by_value
      - .actual_access:  read_only
        .address_space:  global
        .offset:         72
        .size:           8
        .value_kind:     global_buffer
      - .offset:         80
        .size:           8
        .value_kind:     by_value
      - .address_space:  global
        .offset:         88
        .size:           8
        .value_kind:     global_buffer
      - .offset:         96
        .size:           4
        .value_kind:     by_value
      - .offset:         100
        .size:           1
        .value_kind:     by_value
    .group_segment_fixed_size: 0
    .kernarg_segment_align: 8
    .kernarg_segment_size: 104
    .language:       OpenCL C
    .language_version:
      - 2
      - 0
    .max_flat_workgroup_size: 1024
    .name:           _ZN9rocsparseL22bsrxmvn_general_kernelILj1024ELj32E21rocsparse_complex_numIfEiifS2_S2_EEv20rocsparse_direction_NS_24const_host_device_scalarIT1_EET3_PKS7_PKT2_SC_S9_PKT4_S7_PKT5_S6_PT6_21rocsparse_index_base_b
    .private_segment_fixed_size: 0
    .sgpr_count:     32
    .sgpr_spill_count: 0
    .symbol:         _ZN9rocsparseL22bsrxmvn_general_kernelILj1024ELj32E21rocsparse_complex_numIfEiifS2_S2_EEv20rocsparse_direction_NS_24const_host_device_scalarIT1_EET3_PKS7_PKT2_SC_S9_PKT4_S7_PKT5_S6_PT6_21rocsparse_index_base_b.kd
    .uniform_work_group_size: 1
    .uses_dynamic_stack: false
    .vgpr_count:     29
    .vgpr_spill_count: 0
    .wavefront_size: 32
    .workgroup_processor_mode: 1
  - .args:
      - .offset:         0
        .size:           4
        .value_kind:     by_value
      - .offset:         8
        .size:           8
        .value_kind:     by_value
      - .offset:         16
        .size:           4
        .value_kind:     by_value
      - .actual_access:  read_only
        .address_space:  global
        .offset:         24
        .size:           8
        .value_kind:     global_buffer
      - .actual_access:  read_only
        .address_space:  global
        .offset:         32
        .size:           8
        .value_kind:     global_buffer
      - .actual_access:  read_only
        .address_space:  global
        .offset:         40
        .size:           8
        .value_kind:     global_buffer
      - .actual_access:  read_only
        .address_space:  global
        .offset:         48
        .size:           8
        .value_kind:     global_buffer
      - .actual_access:  read_only
        .address_space:  global
        .offset:         56
        .size:           8
        .value_kind:     global_buffer
      - .offset:         64
        .size:           4
        .value_kind:     by_value
      - .actual_access:  read_only
        .address_space:  global
        .offset:         72
        .size:           8
        .value_kind:     global_buffer
      - .offset:         80
        .size:           8
        .value_kind:     by_value
      - .address_space:  global
        .offset:         88
        .size:           8
        .value_kind:     global_buffer
      - .offset:         96
        .size:           4
        .value_kind:     by_value
      - .offset:         100
        .size:           1
        .value_kind:     by_value
    .group_segment_fixed_size: 0
    .kernarg_segment_align: 8
    .kernarg_segment_size: 104
    .language:       OpenCL C
    .language_version:
      - 2
      - 0
    .max_flat_workgroup_size: 64
    .name:           _ZN9rocsparseL22bsrxmvn_general_kernelILj64ELj8E21rocsparse_complex_numIfElifS2_S2_EEv20rocsparse_direction_NS_24const_host_device_scalarIT1_EET3_PKS7_PKT2_SC_S9_PKT4_S7_PKT5_S6_PT6_21rocsparse_index_base_b
    .private_segment_fixed_size: 0
    .sgpr_count:     34
    .sgpr_spill_count: 0
    .symbol:         _ZN9rocsparseL22bsrxmvn_general_kernelILj64ELj8E21rocsparse_complex_numIfElifS2_S2_EEv20rocsparse_direction_NS_24const_host_device_scalarIT1_EET3_PKS7_PKT2_SC_S9_PKT4_S7_PKT5_S6_PT6_21rocsparse_index_base_b.kd
    .uniform_work_group_size: 1
    .uses_dynamic_stack: false
    .vgpr_count:     27
    .vgpr_spill_count: 0
    .wavefront_size: 32
    .workgroup_processor_mode: 1
  - .args:
      - .offset:         0
        .size:           4
        .value_kind:     by_value
      - .offset:         8
        .size:           8
        .value_kind:     by_value
      - .offset:         16
        .size:           4
        .value_kind:     by_value
      - .actual_access:  read_only
        .address_space:  global
        .offset:         24
        .size:           8
        .value_kind:     global_buffer
      - .actual_access:  read_only
        .address_space:  global
        .offset:         32
        .size:           8
        .value_kind:     global_buffer
      - .actual_access:  read_only
        .address_space:  global
        .offset:         40
        .size:           8
        .value_kind:     global_buffer
      - .actual_access:  read_only
        .address_space:  global
        .offset:         48
        .size:           8
        .value_kind:     global_buffer
      - .actual_access:  read_only
        .address_space:  global
        .offset:         56
        .size:           8
        .value_kind:     global_buffer
      - .offset:         64
        .size:           4
        .value_kind:     by_value
      - .actual_access:  read_only
        .address_space:  global
        .offset:         72
        .size:           8
        .value_kind:     global_buffer
      - .offset:         80
        .size:           8
        .value_kind:     by_value
      - .address_space:  global
        .offset:         88
        .size:           8
        .value_kind:     global_buffer
      - .offset:         96
        .size:           4
        .value_kind:     by_value
      - .offset:         100
        .size:           1
        .value_kind:     by_value
    .group_segment_fixed_size: 0
    .kernarg_segment_align: 8
    .kernarg_segment_size: 104
    .language:       OpenCL C
    .language_version:
      - 2
      - 0
    .max_flat_workgroup_size: 256
    .name:           _ZN9rocsparseL22bsrxmvn_general_kernelILj256ELj16E21rocsparse_complex_numIfElifS2_S2_EEv20rocsparse_direction_NS_24const_host_device_scalarIT1_EET3_PKS7_PKT2_SC_S9_PKT4_S7_PKT5_S6_PT6_21rocsparse_index_base_b
    .private_segment_fixed_size: 0
    .sgpr_count:     34
    .sgpr_spill_count: 0
    .symbol:         _ZN9rocsparseL22bsrxmvn_general_kernelILj256ELj16E21rocsparse_complex_numIfElifS2_S2_EEv20rocsparse_direction_NS_24const_host_device_scalarIT1_EET3_PKS7_PKT2_SC_S9_PKT4_S7_PKT5_S6_PT6_21rocsparse_index_base_b.kd
    .uniform_work_group_size: 1
    .uses_dynamic_stack: false
    .vgpr_count:     28
    .vgpr_spill_count: 0
    .wavefront_size: 32
    .workgroup_processor_mode: 1
  - .args:
      - .offset:         0
        .size:           4
        .value_kind:     by_value
      - .offset:         8
        .size:           8
        .value_kind:     by_value
      - .offset:         16
        .size:           4
        .value_kind:     by_value
      - .actual_access:  read_only
        .address_space:  global
        .offset:         24
        .size:           8
        .value_kind:     global_buffer
      - .actual_access:  read_only
        .address_space:  global
        .offset:         32
        .size:           8
        .value_kind:     global_buffer
      - .actual_access:  read_only
        .address_space:  global
        .offset:         40
        .size:           8
        .value_kind:     global_buffer
      - .actual_access:  read_only
        .address_space:  global
        .offset:         48
        .size:           8
        .value_kind:     global_buffer
      - .actual_access:  read_only
        .address_space:  global
        .offset:         56
        .size:           8
        .value_kind:     global_buffer
      - .offset:         64
        .size:           4
        .value_kind:     by_value
      - .actual_access:  read_only
        .address_space:  global
        .offset:         72
        .size:           8
        .value_kind:     global_buffer
      - .offset:         80
        .size:           8
        .value_kind:     by_value
      - .address_space:  global
        .offset:         88
        .size:           8
        .value_kind:     global_buffer
      - .offset:         96
        .size:           4
        .value_kind:     by_value
      - .offset:         100
        .size:           1
        .value_kind:     by_value
    .group_segment_fixed_size: 0
    .kernarg_segment_align: 8
    .kernarg_segment_size: 104
    .language:       OpenCL C
    .language_version:
      - 2
      - 0
    .max_flat_workgroup_size: 1024
    .name:           _ZN9rocsparseL22bsrxmvn_general_kernelILj1024ELj32E21rocsparse_complex_numIfElifS2_S2_EEv20rocsparse_direction_NS_24const_host_device_scalarIT1_EET3_PKS7_PKT2_SC_S9_PKT4_S7_PKT5_S6_PT6_21rocsparse_index_base_b
    .private_segment_fixed_size: 0
    .sgpr_count:     34
    .sgpr_spill_count: 0
    .symbol:         _ZN9rocsparseL22bsrxmvn_general_kernelILj1024ELj32E21rocsparse_complex_numIfElifS2_S2_EEv20rocsparse_direction_NS_24const_host_device_scalarIT1_EET3_PKS7_PKT2_SC_S9_PKT4_S7_PKT5_S6_PT6_21rocsparse_index_base_b.kd
    .uniform_work_group_size: 1
    .uses_dynamic_stack: false
    .vgpr_count:     29
    .vgpr_spill_count: 0
    .wavefront_size: 32
    .workgroup_processor_mode: 1
  - .args:
      - .offset:         0
        .size:           4
        .value_kind:     by_value
      - .offset:         8
        .size:           8
        .value_kind:     by_value
      - .offset:         16
        .size:           8
        .value_kind:     by_value
      - .actual_access:  read_only
        .address_space:  global
        .offset:         24
        .size:           8
        .value_kind:     global_buffer
      - .actual_access:  read_only
        .address_space:  global
        .offset:         32
        .size:           8
        .value_kind:     global_buffer
      - .actual_access:  read_only
        .address_space:  global
        .offset:         40
        .size:           8
        .value_kind:     global_buffer
      - .actual_access:  read_only
        .address_space:  global
        .offset:         48
        .size:           8
        .value_kind:     global_buffer
      - .actual_access:  read_only
        .address_space:  global
        .offset:         56
        .size:           8
        .value_kind:     global_buffer
      - .offset:         64
        .size:           8
        .value_kind:     by_value
      - .actual_access:  read_only
        .address_space:  global
        .offset:         72
        .size:           8
        .value_kind:     global_buffer
      - .offset:         80
        .size:           8
        .value_kind:     by_value
      - .address_space:  global
        .offset:         88
        .size:           8
        .value_kind:     global_buffer
      - .offset:         96
        .size:           4
        .value_kind:     by_value
      - .offset:         100
        .size:           1
        .value_kind:     by_value
    .group_segment_fixed_size: 0
    .kernarg_segment_align: 8
    .kernarg_segment_size: 104
    .language:       OpenCL C
    .language_version:
      - 2
      - 0
    .max_flat_workgroup_size: 64
    .name:           _ZN9rocsparseL22bsrxmvn_general_kernelILj64ELj8E21rocsparse_complex_numIfEllfS2_S2_EEv20rocsparse_direction_NS_24const_host_device_scalarIT1_EET3_PKS7_PKT2_SC_S9_PKT4_S7_PKT5_S6_PT6_21rocsparse_index_base_b
    .private_segment_fixed_size: 0
    .sgpr_count:     38
    .sgpr_spill_count: 0
    .symbol:         _ZN9rocsparseL22bsrxmvn_general_kernelILj64ELj8E21rocsparse_complex_numIfEllfS2_S2_EEv20rocsparse_direction_NS_24const_host_device_scalarIT1_EET3_PKS7_PKT2_SC_S9_PKT4_S7_PKT5_S6_PT6_21rocsparse_index_base_b.kd
    .uniform_work_group_size: 1
    .uses_dynamic_stack: false
    .vgpr_count:     27
    .vgpr_spill_count: 0
    .wavefront_size: 32
    .workgroup_processor_mode: 1
  - .args:
      - .offset:         0
        .size:           4
        .value_kind:     by_value
      - .offset:         8
        .size:           8
        .value_kind:     by_value
      - .offset:         16
        .size:           8
        .value_kind:     by_value
      - .actual_access:  read_only
        .address_space:  global
        .offset:         24
        .size:           8
        .value_kind:     global_buffer
      - .actual_access:  read_only
        .address_space:  global
        .offset:         32
        .size:           8
        .value_kind:     global_buffer
      - .actual_access:  read_only
        .address_space:  global
        .offset:         40
        .size:           8
        .value_kind:     global_buffer
      - .actual_access:  read_only
        .address_space:  global
        .offset:         48
        .size:           8
        .value_kind:     global_buffer
      - .actual_access:  read_only
        .address_space:  global
        .offset:         56
        .size:           8
        .value_kind:     global_buffer
      - .offset:         64
        .size:           8
        .value_kind:     by_value
      - .actual_access:  read_only
        .address_space:  global
        .offset:         72
        .size:           8
        .value_kind:     global_buffer
      - .offset:         80
        .size:           8
        .value_kind:     by_value
      - .address_space:  global
        .offset:         88
        .size:           8
        .value_kind:     global_buffer
      - .offset:         96
        .size:           4
        .value_kind:     by_value
      - .offset:         100
        .size:           1
        .value_kind:     by_value
    .group_segment_fixed_size: 0
    .kernarg_segment_align: 8
    .kernarg_segment_size: 104
    .language:       OpenCL C
    .language_version:
      - 2
      - 0
    .max_flat_workgroup_size: 256
    .name:           _ZN9rocsparseL22bsrxmvn_general_kernelILj256ELj16E21rocsparse_complex_numIfEllfS2_S2_EEv20rocsparse_direction_NS_24const_host_device_scalarIT1_EET3_PKS7_PKT2_SC_S9_PKT4_S7_PKT5_S6_PT6_21rocsparse_index_base_b
    .private_segment_fixed_size: 0
    .sgpr_count:     38
    .sgpr_spill_count: 0
    .symbol:         _ZN9rocsparseL22bsrxmvn_general_kernelILj256ELj16E21rocsparse_complex_numIfEllfS2_S2_EEv20rocsparse_direction_NS_24const_host_device_scalarIT1_EET3_PKS7_PKT2_SC_S9_PKT4_S7_PKT5_S6_PT6_21rocsparse_index_base_b.kd
    .uniform_work_group_size: 1
    .uses_dynamic_stack: false
    .vgpr_count:     28
    .vgpr_spill_count: 0
    .wavefront_size: 32
    .workgroup_processor_mode: 1
  - .args:
      - .offset:         0
        .size:           4
        .value_kind:     by_value
      - .offset:         8
        .size:           8
        .value_kind:     by_value
      - .offset:         16
        .size:           8
        .value_kind:     by_value
      - .actual_access:  read_only
        .address_space:  global
        .offset:         24
        .size:           8
        .value_kind:     global_buffer
      - .actual_access:  read_only
        .address_space:  global
        .offset:         32
        .size:           8
        .value_kind:     global_buffer
      - .actual_access:  read_only
        .address_space:  global
        .offset:         40
        .size:           8
        .value_kind:     global_buffer
      - .actual_access:  read_only
        .address_space:  global
        .offset:         48
        .size:           8
        .value_kind:     global_buffer
      - .actual_access:  read_only
        .address_space:  global
        .offset:         56
        .size:           8
        .value_kind:     global_buffer
      - .offset:         64
        .size:           8
        .value_kind:     by_value
      - .actual_access:  read_only
        .address_space:  global
        .offset:         72
        .size:           8
        .value_kind:     global_buffer
      - .offset:         80
        .size:           8
        .value_kind:     by_value
      - .address_space:  global
        .offset:         88
        .size:           8
        .value_kind:     global_buffer
      - .offset:         96
        .size:           4
        .value_kind:     by_value
      - .offset:         100
        .size:           1
        .value_kind:     by_value
    .group_segment_fixed_size: 0
    .kernarg_segment_align: 8
    .kernarg_segment_size: 104
    .language:       OpenCL C
    .language_version:
      - 2
      - 0
    .max_flat_workgroup_size: 1024
    .name:           _ZN9rocsparseL22bsrxmvn_general_kernelILj1024ELj32E21rocsparse_complex_numIfEllfS2_S2_EEv20rocsparse_direction_NS_24const_host_device_scalarIT1_EET3_PKS7_PKT2_SC_S9_PKT4_S7_PKT5_S6_PT6_21rocsparse_index_base_b
    .private_segment_fixed_size: 0
    .sgpr_count:     38
    .sgpr_spill_count: 0
    .symbol:         _ZN9rocsparseL22bsrxmvn_general_kernelILj1024ELj32E21rocsparse_complex_numIfEllfS2_S2_EEv20rocsparse_direction_NS_24const_host_device_scalarIT1_EET3_PKS7_PKT2_SC_S9_PKT4_S7_PKT5_S6_PT6_21rocsparse_index_base_b.kd
    .uniform_work_group_size: 1
    .uses_dynamic_stack: false
    .vgpr_count:     29
    .vgpr_spill_count: 0
    .wavefront_size: 32
    .workgroup_processor_mode: 1
  - .args:
      - .offset:         0
        .size:           4
        .value_kind:     by_value
      - .offset:         8
        .size:           8
        .value_kind:     by_value
      - .offset:         16
        .size:           4
        .value_kind:     by_value
      - .actual_access:  read_only
        .address_space:  global
        .offset:         24
        .size:           8
        .value_kind:     global_buffer
      - .actual_access:  read_only
        .address_space:  global
        .offset:         32
        .size:           8
        .value_kind:     global_buffer
      - .actual_access:  read_only
        .address_space:  global
        .offset:         40
        .size:           8
        .value_kind:     global_buffer
      - .actual_access:  read_only
        .address_space:  global
        .offset:         48
        .size:           8
        .value_kind:     global_buffer
      - .actual_access:  read_only
        .address_space:  global
        .offset:         56
        .size:           8
        .value_kind:     global_buffer
      - .offset:         64
        .size:           4
        .value_kind:     by_value
      - .actual_access:  read_only
        .address_space:  global
        .offset:         72
        .size:           8
        .value_kind:     global_buffer
      - .offset:         80
        .size:           8
        .value_kind:     by_value
      - .address_space:  global
        .offset:         88
        .size:           8
        .value_kind:     global_buffer
      - .offset:         96
        .size:           4
        .value_kind:     by_value
      - .offset:         100
        .size:           1
        .value_kind:     by_value
    .group_segment_fixed_size: 0
    .kernarg_segment_align: 8
    .kernarg_segment_size: 104
    .language:       OpenCL C
    .language_version:
      - 2
      - 0
    .max_flat_workgroup_size: 64
    .name:           _ZN9rocsparseL22bsrxmvn_general_kernelILj64ELj8EdiifddEEv20rocsparse_direction_NS_24const_host_device_scalarIT1_EET3_PKS5_PKT2_SA_S7_PKT4_S5_PKT5_S4_PT6_21rocsparse_index_base_b
    .private_segment_fixed_size: 0
    .sgpr_count:     32
    .sgpr_spill_count: 0
    .symbol:         _ZN9rocsparseL22bsrxmvn_general_kernelILj64ELj8EdiifddEEv20rocsparse_direction_NS_24const_host_device_scalarIT1_EET3_PKS5_PKT2_SA_S7_PKT4_S5_PKT5_S4_PT6_21rocsparse_index_base_b.kd
    .uniform_work_group_size: 1
    .uses_dynamic_stack: false
    .vgpr_count:     27
    .vgpr_spill_count: 0
    .wavefront_size: 32
    .workgroup_processor_mode: 1
  - .args:
      - .offset:         0
        .size:           4
        .value_kind:     by_value
      - .offset:         8
        .size:           8
        .value_kind:     by_value
      - .offset:         16
        .size:           4
        .value_kind:     by_value
      - .actual_access:  read_only
        .address_space:  global
        .offset:         24
        .size:           8
        .value_kind:     global_buffer
      - .actual_access:  read_only
        .address_space:  global
        .offset:         32
        .size:           8
        .value_kind:     global_buffer
      - .actual_access:  read_only
        .address_space:  global
        .offset:         40
        .size:           8
        .value_kind:     global_buffer
      - .actual_access:  read_only
        .address_space:  global
        .offset:         48
        .size:           8
        .value_kind:     global_buffer
      - .actual_access:  read_only
        .address_space:  global
        .offset:         56
        .size:           8
        .value_kind:     global_buffer
      - .offset:         64
        .size:           4
        .value_kind:     by_value
      - .actual_access:  read_only
        .address_space:  global
        .offset:         72
        .size:           8
        .value_kind:     global_buffer
      - .offset:         80
        .size:           8
        .value_kind:     by_value
      - .address_space:  global
        .offset:         88
        .size:           8
        .value_kind:     global_buffer
      - .offset:         96
        .size:           4
        .value_kind:     by_value
      - .offset:         100
        .size:           1
        .value_kind:     by_value
    .group_segment_fixed_size: 0
    .kernarg_segment_align: 8
    .kernarg_segment_size: 104
    .language:       OpenCL C
    .language_version:
      - 2
      - 0
    .max_flat_workgroup_size: 256
    .name:           _ZN9rocsparseL22bsrxmvn_general_kernelILj256ELj16EdiifddEEv20rocsparse_direction_NS_24const_host_device_scalarIT1_EET3_PKS5_PKT2_SA_S7_PKT4_S5_PKT5_S4_PT6_21rocsparse_index_base_b
    .private_segment_fixed_size: 0
    .sgpr_count:     32
    .sgpr_spill_count: 0
    .symbol:         _ZN9rocsparseL22bsrxmvn_general_kernelILj256ELj16EdiifddEEv20rocsparse_direction_NS_24const_host_device_scalarIT1_EET3_PKS5_PKT2_SA_S7_PKT4_S5_PKT5_S4_PT6_21rocsparse_index_base_b.kd
    .uniform_work_group_size: 1
    .uses_dynamic_stack: false
    .vgpr_count:     28
    .vgpr_spill_count: 0
    .wavefront_size: 32
    .workgroup_processor_mode: 1
  - .args:
      - .offset:         0
        .size:           4
        .value_kind:     by_value
      - .offset:         8
        .size:           8
        .value_kind:     by_value
      - .offset:         16
        .size:           4
        .value_kind:     by_value
      - .actual_access:  read_only
        .address_space:  global
        .offset:         24
        .size:           8
        .value_kind:     global_buffer
      - .actual_access:  read_only
        .address_space:  global
        .offset:         32
        .size:           8
        .value_kind:     global_buffer
      - .actual_access:  read_only
        .address_space:  global
        .offset:         40
        .size:           8
        .value_kind:     global_buffer
      - .actual_access:  read_only
        .address_space:  global
        .offset:         48
        .size:           8
        .value_kind:     global_buffer
      - .actual_access:  read_only
        .address_space:  global
        .offset:         56
        .size:           8
        .value_kind:     global_buffer
      - .offset:         64
        .size:           4
        .value_kind:     by_value
      - .actual_access:  read_only
        .address_space:  global
        .offset:         72
        .size:           8
        .value_kind:     global_buffer
      - .offset:         80
        .size:           8
        .value_kind:     by_value
      - .address_space:  global
        .offset:         88
        .size:           8
        .value_kind:     global_buffer
      - .offset:         96
        .size:           4
        .value_kind:     by_value
      - .offset:         100
        .size:           1
        .value_kind:     by_value
    .group_segment_fixed_size: 0
    .kernarg_segment_align: 8
    .kernarg_segment_size: 104
    .language:       OpenCL C
    .language_version:
      - 2
      - 0
    .max_flat_workgroup_size: 1024
    .name:           _ZN9rocsparseL22bsrxmvn_general_kernelILj1024ELj32EdiifddEEv20rocsparse_direction_NS_24const_host_device_scalarIT1_EET3_PKS5_PKT2_SA_S7_PKT4_S5_PKT5_S4_PT6_21rocsparse_index_base_b
    .private_segment_fixed_size: 0
    .sgpr_count:     32
    .sgpr_spill_count: 0
    .symbol:         _ZN9rocsparseL22bsrxmvn_general_kernelILj1024ELj32EdiifddEEv20rocsparse_direction_NS_24const_host_device_scalarIT1_EET3_PKS5_PKT2_SA_S7_PKT4_S5_PKT5_S4_PT6_21rocsparse_index_base_b.kd
    .uniform_work_group_size: 1
    .uses_dynamic_stack: false
    .vgpr_count:     29
    .vgpr_spill_count: 0
    .wavefront_size: 32
    .workgroup_processor_mode: 1
  - .args:
      - .offset:         0
        .size:           4
        .value_kind:     by_value
      - .offset:         8
        .size:           8
        .value_kind:     by_value
      - .offset:         16
        .size:           4
        .value_kind:     by_value
      - .actual_access:  read_only
        .address_space:  global
        .offset:         24
        .size:           8
        .value_kind:     global_buffer
      - .actual_access:  read_only
        .address_space:  global
        .offset:         32
        .size:           8
        .value_kind:     global_buffer
      - .actual_access:  read_only
        .address_space:  global
        .offset:         40
        .size:           8
        .value_kind:     global_buffer
      - .actual_access:  read_only
        .address_space:  global
        .offset:         48
        .size:           8
        .value_kind:     global_buffer
      - .actual_access:  read_only
        .address_space:  global
        .offset:         56
        .size:           8
        .value_kind:     global_buffer
      - .offset:         64
        .size:           4
        .value_kind:     by_value
      - .actual_access:  read_only
        .address_space:  global
        .offset:         72
        .size:           8
        .value_kind:     global_buffer
      - .offset:         80
        .size:           8
        .value_kind:     by_value
      - .address_space:  global
        .offset:         88
        .size:           8
        .value_kind:     global_buffer
      - .offset:         96
        .size:           4
        .value_kind:     by_value
      - .offset:         100
        .size:           1
        .value_kind:     by_value
    .group_segment_fixed_size: 0
    .kernarg_segment_align: 8
    .kernarg_segment_size: 104
    .language:       OpenCL C
    .language_version:
      - 2
      - 0
    .max_flat_workgroup_size: 64
    .name:           _ZN9rocsparseL22bsrxmvn_general_kernelILj64ELj8EdlifddEEv20rocsparse_direction_NS_24const_host_device_scalarIT1_EET3_PKS5_PKT2_SA_S7_PKT4_S5_PKT5_S4_PT6_21rocsparse_index_base_b
    .private_segment_fixed_size: 0
    .sgpr_count:     34
    .sgpr_spill_count: 0
    .symbol:         _ZN9rocsparseL22bsrxmvn_general_kernelILj64ELj8EdlifddEEv20rocsparse_direction_NS_24const_host_device_scalarIT1_EET3_PKS5_PKT2_SA_S7_PKT4_S5_PKT5_S4_PT6_21rocsparse_index_base_b.kd
    .uniform_work_group_size: 1
    .uses_dynamic_stack: false
    .vgpr_count:     27
    .vgpr_spill_count: 0
    .wavefront_size: 32
    .workgroup_processor_mode: 1
  - .args:
      - .offset:         0
        .size:           4
        .value_kind:     by_value
      - .offset:         8
        .size:           8
        .value_kind:     by_value
      - .offset:         16
        .size:           4
        .value_kind:     by_value
      - .actual_access:  read_only
        .address_space:  global
        .offset:         24
        .size:           8
        .value_kind:     global_buffer
      - .actual_access:  read_only
        .address_space:  global
        .offset:         32
        .size:           8
        .value_kind:     global_buffer
      - .actual_access:  read_only
        .address_space:  global
        .offset:         40
        .size:           8
        .value_kind:     global_buffer
      - .actual_access:  read_only
        .address_space:  global
        .offset:         48
        .size:           8
        .value_kind:     global_buffer
      - .actual_access:  read_only
        .address_space:  global
        .offset:         56
        .size:           8
        .value_kind:     global_buffer
      - .offset:         64
        .size:           4
        .value_kind:     by_value
      - .actual_access:  read_only
        .address_space:  global
        .offset:         72
        .size:           8
        .value_kind:     global_buffer
      - .offset:         80
        .size:           8
        .value_kind:     by_value
      - .address_space:  global
        .offset:         88
        .size:           8
        .value_kind:     global_buffer
      - .offset:         96
        .size:           4
        .value_kind:     by_value
      - .offset:         100
        .size:           1
        .value_kind:     by_value
    .group_segment_fixed_size: 0
    .kernarg_segment_align: 8
    .kernarg_segment_size: 104
    .language:       OpenCL C
    .language_version:
      - 2
      - 0
    .max_flat_workgroup_size: 256
    .name:           _ZN9rocsparseL22bsrxmvn_general_kernelILj256ELj16EdlifddEEv20rocsparse_direction_NS_24const_host_device_scalarIT1_EET3_PKS5_PKT2_SA_S7_PKT4_S5_PKT5_S4_PT6_21rocsparse_index_base_b
    .private_segment_fixed_size: 0
    .sgpr_count:     34
    .sgpr_spill_count: 0
    .symbol:         _ZN9rocsparseL22bsrxmvn_general_kernelILj256ELj16EdlifddEEv20rocsparse_direction_NS_24const_host_device_scalarIT1_EET3_PKS5_PKT2_SA_S7_PKT4_S5_PKT5_S4_PT6_21rocsparse_index_base_b.kd
    .uniform_work_group_size: 1
    .uses_dynamic_stack: false
    .vgpr_count:     28
    .vgpr_spill_count: 0
    .wavefront_size: 32
    .workgroup_processor_mode: 1
  - .args:
      - .offset:         0
        .size:           4
        .value_kind:     by_value
      - .offset:         8
        .size:           8
        .value_kind:     by_value
      - .offset:         16
        .size:           4
        .value_kind:     by_value
      - .actual_access:  read_only
        .address_space:  global
        .offset:         24
        .size:           8
        .value_kind:     global_buffer
      - .actual_access:  read_only
        .address_space:  global
        .offset:         32
        .size:           8
        .value_kind:     global_buffer
      - .actual_access:  read_only
        .address_space:  global
        .offset:         40
        .size:           8
        .value_kind:     global_buffer
      - .actual_access:  read_only
        .address_space:  global
        .offset:         48
        .size:           8
        .value_kind:     global_buffer
      - .actual_access:  read_only
        .address_space:  global
        .offset:         56
        .size:           8
        .value_kind:     global_buffer
      - .offset:         64
        .size:           4
        .value_kind:     by_value
      - .actual_access:  read_only
        .address_space:  global
        .offset:         72
        .size:           8
        .value_kind:     global_buffer
      - .offset:         80
        .size:           8
        .value_kind:     by_value
      - .address_space:  global
        .offset:         88
        .size:           8
        .value_kind:     global_buffer
      - .offset:         96
        .size:           4
        .value_kind:     by_value
      - .offset:         100
        .size:           1
        .value_kind:     by_value
    .group_segment_fixed_size: 0
    .kernarg_segment_align: 8
    .kernarg_segment_size: 104
    .language:       OpenCL C
    .language_version:
      - 2
      - 0
    .max_flat_workgroup_size: 1024
    .name:           _ZN9rocsparseL22bsrxmvn_general_kernelILj1024ELj32EdlifddEEv20rocsparse_direction_NS_24const_host_device_scalarIT1_EET3_PKS5_PKT2_SA_S7_PKT4_S5_PKT5_S4_PT6_21rocsparse_index_base_b
    .private_segment_fixed_size: 0
    .sgpr_count:     34
    .sgpr_spill_count: 0
    .symbol:         _ZN9rocsparseL22bsrxmvn_general_kernelILj1024ELj32EdlifddEEv20rocsparse_direction_NS_24const_host_device_scalarIT1_EET3_PKS5_PKT2_SA_S7_PKT4_S5_PKT5_S4_PT6_21rocsparse_index_base_b.kd
    .uniform_work_group_size: 1
    .uses_dynamic_stack: false
    .vgpr_count:     29
    .vgpr_spill_count: 0
    .wavefront_size: 32
    .workgroup_processor_mode: 1
  - .args:
      - .offset:         0
        .size:           4
        .value_kind:     by_value
      - .offset:         8
        .size:           8
        .value_kind:     by_value
      - .offset:         16
        .size:           8
        .value_kind:     by_value
      - .actual_access:  read_only
        .address_space:  global
        .offset:         24
        .size:           8
        .value_kind:     global_buffer
      - .actual_access:  read_only
        .address_space:  global
        .offset:         32
        .size:           8
        .value_kind:     global_buffer
      - .actual_access:  read_only
        .address_space:  global
        .offset:         40
        .size:           8
        .value_kind:     global_buffer
      - .actual_access:  read_only
        .address_space:  global
        .offset:         48
        .size:           8
        .value_kind:     global_buffer
      - .actual_access:  read_only
        .address_space:  global
        .offset:         56
        .size:           8
        .value_kind:     global_buffer
      - .offset:         64
        .size:           8
        .value_kind:     by_value
      - .actual_access:  read_only
        .address_space:  global
        .offset:         72
        .size:           8
        .value_kind:     global_buffer
      - .offset:         80
        .size:           8
        .value_kind:     by_value
      - .address_space:  global
        .offset:         88
        .size:           8
        .value_kind:     global_buffer
      - .offset:         96
        .size:           4
        .value_kind:     by_value
      - .offset:         100
        .size:           1
        .value_kind:     by_value
    .group_segment_fixed_size: 0
    .kernarg_segment_align: 8
    .kernarg_segment_size: 104
    .language:       OpenCL C
    .language_version:
      - 2
      - 0
    .max_flat_workgroup_size: 64
    .name:           _ZN9rocsparseL22bsrxmvn_general_kernelILj64ELj8EdllfddEEv20rocsparse_direction_NS_24const_host_device_scalarIT1_EET3_PKS5_PKT2_SA_S7_PKT4_S5_PKT5_S4_PT6_21rocsparse_index_base_b
    .private_segment_fixed_size: 0
    .sgpr_count:     36
    .sgpr_spill_count: 0
    .symbol:         _ZN9rocsparseL22bsrxmvn_general_kernelILj64ELj8EdllfddEEv20rocsparse_direction_NS_24const_host_device_scalarIT1_EET3_PKS5_PKT2_SA_S7_PKT4_S5_PKT5_S4_PT6_21rocsparse_index_base_b.kd
    .uniform_work_group_size: 1
    .uses_dynamic_stack: false
    .vgpr_count:     27
    .vgpr_spill_count: 0
    .wavefront_size: 32
    .workgroup_processor_mode: 1
  - .args:
      - .offset:         0
        .size:           4
        .value_kind:     by_value
      - .offset:         8
        .size:           8
        .value_kind:     by_value
      - .offset:         16
        .size:           8
        .value_kind:     by_value
      - .actual_access:  read_only
        .address_space:  global
        .offset:         24
        .size:           8
        .value_kind:     global_buffer
      - .actual_access:  read_only
        .address_space:  global
        .offset:         32
        .size:           8
        .value_kind:     global_buffer
      - .actual_access:  read_only
        .address_space:  global
        .offset:         40
        .size:           8
        .value_kind:     global_buffer
      - .actual_access:  read_only
        .address_space:  global
        .offset:         48
        .size:           8
        .value_kind:     global_buffer
      - .actual_access:  read_only
        .address_space:  global
        .offset:         56
        .size:           8
        .value_kind:     global_buffer
      - .offset:         64
        .size:           8
        .value_kind:     by_value
      - .actual_access:  read_only
        .address_space:  global
        .offset:         72
        .size:           8
        .value_kind:     global_buffer
      - .offset:         80
        .size:           8
        .value_kind:     by_value
      - .address_space:  global
        .offset:         88
        .size:           8
        .value_kind:     global_buffer
      - .offset:         96
        .size:           4
        .value_kind:     by_value
      - .offset:         100
        .size:           1
        .value_kind:     by_value
    .group_segment_fixed_size: 0
    .kernarg_segment_align: 8
    .kernarg_segment_size: 104
    .language:       OpenCL C
    .language_version:
      - 2
      - 0
    .max_flat_workgroup_size: 256
    .name:           _ZN9rocsparseL22bsrxmvn_general_kernelILj256ELj16EdllfddEEv20rocsparse_direction_NS_24const_host_device_scalarIT1_EET3_PKS5_PKT2_SA_S7_PKT4_S5_PKT5_S4_PT6_21rocsparse_index_base_b
    .private_segment_fixed_size: 0
    .sgpr_count:     36
    .sgpr_spill_count: 0
    .symbol:         _ZN9rocsparseL22bsrxmvn_general_kernelILj256ELj16EdllfddEEv20rocsparse_direction_NS_24const_host_device_scalarIT1_EET3_PKS5_PKT2_SA_S7_PKT4_S5_PKT5_S4_PT6_21rocsparse_index_base_b.kd
    .uniform_work_group_size: 1
    .uses_dynamic_stack: false
    .vgpr_count:     28
    .vgpr_spill_count: 0
    .wavefront_size: 32
    .workgroup_processor_mode: 1
  - .args:
      - .offset:         0
        .size:           4
        .value_kind:     by_value
      - .offset:         8
        .size:           8
        .value_kind:     by_value
      - .offset:         16
        .size:           8
        .value_kind:     by_value
      - .actual_access:  read_only
        .address_space:  global
        .offset:         24
        .size:           8
        .value_kind:     global_buffer
      - .actual_access:  read_only
        .address_space:  global
        .offset:         32
        .size:           8
        .value_kind:     global_buffer
      - .actual_access:  read_only
        .address_space:  global
        .offset:         40
        .size:           8
        .value_kind:     global_buffer
      - .actual_access:  read_only
        .address_space:  global
        .offset:         48
        .size:           8
        .value_kind:     global_buffer
      - .actual_access:  read_only
        .address_space:  global
        .offset:         56
        .size:           8
        .value_kind:     global_buffer
      - .offset:         64
        .size:           8
        .value_kind:     by_value
      - .actual_access:  read_only
        .address_space:  global
        .offset:         72
        .size:           8
        .value_kind:     global_buffer
      - .offset:         80
        .size:           8
        .value_kind:     by_value
      - .address_space:  global
        .offset:         88
        .size:           8
        .value_kind:     global_buffer
      - .offset:         96
        .size:           4
        .value_kind:     by_value
      - .offset:         100
        .size:           1
        .value_kind:     by_value
    .group_segment_fixed_size: 0
    .kernarg_segment_align: 8
    .kernarg_segment_size: 104
    .language:       OpenCL C
    .language_version:
      - 2
      - 0
    .max_flat_workgroup_size: 1024
    .name:           _ZN9rocsparseL22bsrxmvn_general_kernelILj1024ELj32EdllfddEEv20rocsparse_direction_NS_24const_host_device_scalarIT1_EET3_PKS5_PKT2_SA_S7_PKT4_S5_PKT5_S4_PT6_21rocsparse_index_base_b
    .private_segment_fixed_size: 0
    .sgpr_count:     37
    .sgpr_spill_count: 0
    .symbol:         _ZN9rocsparseL22bsrxmvn_general_kernelILj1024ELj32EdllfddEEv20rocsparse_direction_NS_24const_host_device_scalarIT1_EET3_PKS5_PKT2_SA_S7_PKT4_S5_PKT5_S4_PT6_21rocsparse_index_base_b.kd
    .uniform_work_group_size: 1
    .uses_dynamic_stack: false
    .vgpr_count:     29
    .vgpr_spill_count: 0
    .wavefront_size: 32
    .workgroup_processor_mode: 1
  - .args:
      - .offset:         0
        .size:           4
        .value_kind:     by_value
      - .offset:         8
        .size:           16
        .value_kind:     by_value
      - .offset:         24
        .size:           4
        .value_kind:     by_value
      - .actual_access:  read_only
        .address_space:  global
        .offset:         32
        .size:           8
        .value_kind:     global_buffer
      - .actual_access:  read_only
        .address_space:  global
        .offset:         40
        .size:           8
        .value_kind:     global_buffer
      - .actual_access:  read_only
        .address_space:  global
        .offset:         48
        .size:           8
        .value_kind:     global_buffer
      - .actual_access:  read_only
        .address_space:  global
        .offset:         56
        .size:           8
        .value_kind:     global_buffer
      - .actual_access:  read_only
        .address_space:  global
        .offset:         64
        .size:           8
        .value_kind:     global_buffer
      - .offset:         72
        .size:           4
        .value_kind:     by_value
      - .actual_access:  read_only
        .address_space:  global
        .offset:         80
        .size:           8
        .value_kind:     global_buffer
      - .offset:         88
        .size:           16
        .value_kind:     by_value
      - .address_space:  global
        .offset:         104
        .size:           8
        .value_kind:     global_buffer
      - .offset:         112
        .size:           4
        .value_kind:     by_value
      - .offset:         116
        .size:           1
        .value_kind:     by_value
    .group_segment_fixed_size: 0
    .kernarg_segment_align: 8
    .kernarg_segment_size: 120
    .language:       OpenCL C
    .language_version:
      - 2
      - 0
    .max_flat_workgroup_size: 64
    .name:           _ZN9rocsparseL22bsrxmvn_general_kernelILj64ELj8E21rocsparse_complex_numIdEiidS2_S2_EEv20rocsparse_direction_NS_24const_host_device_scalarIT1_EET3_PKS7_PKT2_SC_S9_PKT4_S7_PKT5_S6_PT6_21rocsparse_index_base_b
    .private_segment_fixed_size: 0
    .sgpr_count:     32
    .sgpr_spill_count: 0
    .symbol:         _ZN9rocsparseL22bsrxmvn_general_kernelILj64ELj8E21rocsparse_complex_numIdEiidS2_S2_EEv20rocsparse_direction_NS_24const_host_device_scalarIT1_EET3_PKS7_PKT2_SC_S9_PKT4_S7_PKT5_S6_PT6_21rocsparse_index_base_b.kd
    .uniform_work_group_size: 1
    .uses_dynamic_stack: false
    .vgpr_count:     34
    .vgpr_spill_count: 0
    .wavefront_size: 32
    .workgroup_processor_mode: 1
  - .args:
      - .offset:         0
        .size:           4
        .value_kind:     by_value
      - .offset:         8
        .size:           16
        .value_kind:     by_value
      - .offset:         24
        .size:           4
        .value_kind:     by_value
      - .actual_access:  read_only
        .address_space:  global
        .offset:         32
        .size:           8
        .value_kind:     global_buffer
      - .actual_access:  read_only
        .address_space:  global
        .offset:         40
        .size:           8
        .value_kind:     global_buffer
      - .actual_access:  read_only
        .address_space:  global
        .offset:         48
        .size:           8
        .value_kind:     global_buffer
      - .actual_access:  read_only
        .address_space:  global
        .offset:         56
        .size:           8
        .value_kind:     global_buffer
      - .actual_access:  read_only
        .address_space:  global
        .offset:         64
        .size:           8
        .value_kind:     global_buffer
      - .offset:         72
        .size:           4
        .value_kind:     by_value
      - .actual_access:  read_only
        .address_space:  global
        .offset:         80
        .size:           8
        .value_kind:     global_buffer
      - .offset:         88
        .size:           16
        .value_kind:     by_value
      - .address_space:  global
        .offset:         104
        .size:           8
        .value_kind:     global_buffer
      - .offset:         112
        .size:           4
        .value_kind:     by_value
      - .offset:         116
        .size:           1
        .value_kind:     by_value
    .group_segment_fixed_size: 0
    .kernarg_segment_align: 8
    .kernarg_segment_size: 120
    .language:       OpenCL C
    .language_version:
      - 2
      - 0
    .max_flat_workgroup_size: 256
    .name:           _ZN9rocsparseL22bsrxmvn_general_kernelILj256ELj16E21rocsparse_complex_numIdEiidS2_S2_EEv20rocsparse_direction_NS_24const_host_device_scalarIT1_EET3_PKS7_PKT2_SC_S9_PKT4_S7_PKT5_S6_PT6_21rocsparse_index_base_b
    .private_segment_fixed_size: 0
    .sgpr_count:     32
    .sgpr_spill_count: 0
    .symbol:         _ZN9rocsparseL22bsrxmvn_general_kernelILj256ELj16E21rocsparse_complex_numIdEiidS2_S2_EEv20rocsparse_direction_NS_24const_host_device_scalarIT1_EET3_PKS7_PKT2_SC_S9_PKT4_S7_PKT5_S6_PT6_21rocsparse_index_base_b.kd
    .uniform_work_group_size: 1
    .uses_dynamic_stack: false
    .vgpr_count:     35
    .vgpr_spill_count: 0
    .wavefront_size: 32
    .workgroup_processor_mode: 1
  - .args:
      - .offset:         0
        .size:           4
        .value_kind:     by_value
      - .offset:         8
        .size:           16
        .value_kind:     by_value
      - .offset:         24
        .size:           4
        .value_kind:     by_value
      - .actual_access:  read_only
        .address_space:  global
        .offset:         32
        .size:           8
        .value_kind:     global_buffer
      - .actual_access:  read_only
        .address_space:  global
        .offset:         40
        .size:           8
        .value_kind:     global_buffer
      - .actual_access:  read_only
        .address_space:  global
        .offset:         48
        .size:           8
        .value_kind:     global_buffer
      - .actual_access:  read_only
        .address_space:  global
        .offset:         56
        .size:           8
        .value_kind:     global_buffer
      - .actual_access:  read_only
        .address_space:  global
        .offset:         64
        .size:           8
        .value_kind:     global_buffer
      - .offset:         72
        .size:           4
        .value_kind:     by_value
      - .actual_access:  read_only
        .address_space:  global
        .offset:         80
        .size:           8
        .value_kind:     global_buffer
      - .offset:         88
        .size:           16
        .value_kind:     by_value
      - .address_space:  global
        .offset:         104
        .size:           8
        .value_kind:     global_buffer
      - .offset:         112
        .size:           4
        .value_kind:     by_value
      - .offset:         116
        .size:           1
        .value_kind:     by_value
    .group_segment_fixed_size: 0
    .kernarg_segment_align: 8
    .kernarg_segment_size: 120
    .language:       OpenCL C
    .language_version:
      - 2
      - 0
    .max_flat_workgroup_size: 1024
    .name:           _ZN9rocsparseL22bsrxmvn_general_kernelILj1024ELj32E21rocsparse_complex_numIdEiidS2_S2_EEv20rocsparse_direction_NS_24const_host_device_scalarIT1_EET3_PKS7_PKT2_SC_S9_PKT4_S7_PKT5_S6_PT6_21rocsparse_index_base_b
    .private_segment_fixed_size: 0
    .sgpr_count:     32
    .sgpr_spill_count: 0
    .symbol:         _ZN9rocsparseL22bsrxmvn_general_kernelILj1024ELj32E21rocsparse_complex_numIdEiidS2_S2_EEv20rocsparse_direction_NS_24const_host_device_scalarIT1_EET3_PKS7_PKT2_SC_S9_PKT4_S7_PKT5_S6_PT6_21rocsparse_index_base_b.kd
    .uniform_work_group_size: 1
    .uses_dynamic_stack: false
    .vgpr_count:     36
    .vgpr_spill_count: 0
    .wavefront_size: 32
    .workgroup_processor_mode: 1
  - .args:
      - .offset:         0
        .size:           4
        .value_kind:     by_value
      - .offset:         8
        .size:           16
        .value_kind:     by_value
      - .offset:         24
        .size:           4
        .value_kind:     by_value
      - .actual_access:  read_only
        .address_space:  global
        .offset:         32
        .size:           8
        .value_kind:     global_buffer
      - .actual_access:  read_only
        .address_space:  global
        .offset:         40
        .size:           8
        .value_kind:     global_buffer
      - .actual_access:  read_only
        .address_space:  global
        .offset:         48
        .size:           8
        .value_kind:     global_buffer
      - .actual_access:  read_only
        .address_space:  global
        .offset:         56
        .size:           8
        .value_kind:     global_buffer
      - .actual_access:  read_only
        .address_space:  global
        .offset:         64
        .size:           8
        .value_kind:     global_buffer
      - .offset:         72
        .size:           4
        .value_kind:     by_value
      - .actual_access:  read_only
        .address_space:  global
        .offset:         80
        .size:           8
        .value_kind:     global_buffer
      - .offset:         88
        .size:           16
        .value_kind:     by_value
      - .address_space:  global
        .offset:         104
        .size:           8
        .value_kind:     global_buffer
      - .offset:         112
        .size:           4
        .value_kind:     by_value
      - .offset:         116
        .size:           1
        .value_kind:     by_value
    .group_segment_fixed_size: 0
    .kernarg_segment_align: 8
    .kernarg_segment_size: 120
    .language:       OpenCL C
    .language_version:
      - 2
      - 0
    .max_flat_workgroup_size: 64
    .name:           _ZN9rocsparseL22bsrxmvn_general_kernelILj64ELj8E21rocsparse_complex_numIdElidS2_S2_EEv20rocsparse_direction_NS_24const_host_device_scalarIT1_EET3_PKS7_PKT2_SC_S9_PKT4_S7_PKT5_S6_PT6_21rocsparse_index_base_b
    .private_segment_fixed_size: 0
    .sgpr_count:     34
    .sgpr_spill_count: 0
    .symbol:         _ZN9rocsparseL22bsrxmvn_general_kernelILj64ELj8E21rocsparse_complex_numIdElidS2_S2_EEv20rocsparse_direction_NS_24const_host_device_scalarIT1_EET3_PKS7_PKT2_SC_S9_PKT4_S7_PKT5_S6_PT6_21rocsparse_index_base_b.kd
    .uniform_work_group_size: 1
    .uses_dynamic_stack: false
    .vgpr_count:     34
    .vgpr_spill_count: 0
    .wavefront_size: 32
    .workgroup_processor_mode: 1
  - .args:
      - .offset:         0
        .size:           4
        .value_kind:     by_value
      - .offset:         8
        .size:           16
        .value_kind:     by_value
      - .offset:         24
        .size:           4
        .value_kind:     by_value
      - .actual_access:  read_only
        .address_space:  global
        .offset:         32
        .size:           8
        .value_kind:     global_buffer
      - .actual_access:  read_only
        .address_space:  global
        .offset:         40
        .size:           8
        .value_kind:     global_buffer
      - .actual_access:  read_only
        .address_space:  global
        .offset:         48
        .size:           8
        .value_kind:     global_buffer
      - .actual_access:  read_only
        .address_space:  global
        .offset:         56
        .size:           8
        .value_kind:     global_buffer
      - .actual_access:  read_only
        .address_space:  global
        .offset:         64
        .size:           8
        .value_kind:     global_buffer
      - .offset:         72
        .size:           4
        .value_kind:     by_value
      - .actual_access:  read_only
        .address_space:  global
        .offset:         80
        .size:           8
        .value_kind:     global_buffer
      - .offset:         88
        .size:           16
        .value_kind:     by_value
      - .address_space:  global
        .offset:         104
        .size:           8
        .value_kind:     global_buffer
      - .offset:         112
        .size:           4
        .value_kind:     by_value
      - .offset:         116
        .size:           1
        .value_kind:     by_value
    .group_segment_fixed_size: 0
    .kernarg_segment_align: 8
    .kernarg_segment_size: 120
    .language:       OpenCL C
    .language_version:
      - 2
      - 0
    .max_flat_workgroup_size: 256
    .name:           _ZN9rocsparseL22bsrxmvn_general_kernelILj256ELj16E21rocsparse_complex_numIdElidS2_S2_EEv20rocsparse_direction_NS_24const_host_device_scalarIT1_EET3_PKS7_PKT2_SC_S9_PKT4_S7_PKT5_S6_PT6_21rocsparse_index_base_b
    .private_segment_fixed_size: 0
    .sgpr_count:     34
    .sgpr_spill_count: 0
    .symbol:         _ZN9rocsparseL22bsrxmvn_general_kernelILj256ELj16E21rocsparse_complex_numIdElidS2_S2_EEv20rocsparse_direction_NS_24const_host_device_scalarIT1_EET3_PKS7_PKT2_SC_S9_PKT4_S7_PKT5_S6_PT6_21rocsparse_index_base_b.kd
    .uniform_work_group_size: 1
    .uses_dynamic_stack: false
    .vgpr_count:     35
    .vgpr_spill_count: 0
    .wavefront_size: 32
    .workgroup_processor_mode: 1
  - .args:
      - .offset:         0
        .size:           4
        .value_kind:     by_value
      - .offset:         8
        .size:           16
        .value_kind:     by_value
      - .offset:         24
        .size:           4
        .value_kind:     by_value
      - .actual_access:  read_only
        .address_space:  global
        .offset:         32
        .size:           8
        .value_kind:     global_buffer
      - .actual_access:  read_only
        .address_space:  global
        .offset:         40
        .size:           8
        .value_kind:     global_buffer
      - .actual_access:  read_only
        .address_space:  global
        .offset:         48
        .size:           8
        .value_kind:     global_buffer
      - .actual_access:  read_only
        .address_space:  global
        .offset:         56
        .size:           8
        .value_kind:     global_buffer
      - .actual_access:  read_only
        .address_space:  global
        .offset:         64
        .size:           8
        .value_kind:     global_buffer
      - .offset:         72
        .size:           4
        .value_kind:     by_value
      - .actual_access:  read_only
        .address_space:  global
        .offset:         80
        .size:           8
        .value_kind:     global_buffer
      - .offset:         88
        .size:           16
        .value_kind:     by_value
      - .address_space:  global
        .offset:         104
        .size:           8
        .value_kind:     global_buffer
      - .offset:         112
        .size:           4
        .value_kind:     by_value
      - .offset:         116
        .size:           1
        .value_kind:     by_value
    .group_segment_fixed_size: 0
    .kernarg_segment_align: 8
    .kernarg_segment_size: 120
    .language:       OpenCL C
    .language_version:
      - 2
      - 0
    .max_flat_workgroup_size: 1024
    .name:           _ZN9rocsparseL22bsrxmvn_general_kernelILj1024ELj32E21rocsparse_complex_numIdElidS2_S2_EEv20rocsparse_direction_NS_24const_host_device_scalarIT1_EET3_PKS7_PKT2_SC_S9_PKT4_S7_PKT5_S6_PT6_21rocsparse_index_base_b
    .private_segment_fixed_size: 0
    .sgpr_count:     34
    .sgpr_spill_count: 0
    .symbol:         _ZN9rocsparseL22bsrxmvn_general_kernelILj1024ELj32E21rocsparse_complex_numIdElidS2_S2_EEv20rocsparse_direction_NS_24const_host_device_scalarIT1_EET3_PKS7_PKT2_SC_S9_PKT4_S7_PKT5_S6_PT6_21rocsparse_index_base_b.kd
    .uniform_work_group_size: 1
    .uses_dynamic_stack: false
    .vgpr_count:     36
    .vgpr_spill_count: 0
    .wavefront_size: 32
    .workgroup_processor_mode: 1
  - .args:
      - .offset:         0
        .size:           4
        .value_kind:     by_value
      - .offset:         8
        .size:           16
        .value_kind:     by_value
      - .offset:         24
        .size:           8
        .value_kind:     by_value
      - .actual_access:  read_only
        .address_space:  global
        .offset:         32
        .size:           8
        .value_kind:     global_buffer
      - .actual_access:  read_only
        .address_space:  global
        .offset:         40
        .size:           8
        .value_kind:     global_buffer
      - .actual_access:  read_only
        .address_space:  global
        .offset:         48
        .size:           8
        .value_kind:     global_buffer
      - .actual_access:  read_only
        .address_space:  global
        .offset:         56
        .size:           8
        .value_kind:     global_buffer
      - .actual_access:  read_only
        .address_space:  global
        .offset:         64
        .size:           8
        .value_kind:     global_buffer
      - .offset:         72
        .size:           8
        .value_kind:     by_value
      - .actual_access:  read_only
        .address_space:  global
        .offset:         80
        .size:           8
        .value_kind:     global_buffer
      - .offset:         88
        .size:           16
        .value_kind:     by_value
      - .address_space:  global
        .offset:         104
        .size:           8
        .value_kind:     global_buffer
      - .offset:         112
        .size:           4
        .value_kind:     by_value
      - .offset:         116
        .size:           1
        .value_kind:     by_value
    .group_segment_fixed_size: 0
    .kernarg_segment_align: 8
    .kernarg_segment_size: 120
    .language:       OpenCL C
    .language_version:
      - 2
      - 0
    .max_flat_workgroup_size: 64
    .name:           _ZN9rocsparseL22bsrxmvn_general_kernelILj64ELj8E21rocsparse_complex_numIdElldS2_S2_EEv20rocsparse_direction_NS_24const_host_device_scalarIT1_EET3_PKS7_PKT2_SC_S9_PKT4_S7_PKT5_S6_PT6_21rocsparse_index_base_b
    .private_segment_fixed_size: 0
    .sgpr_count:     38
    .sgpr_spill_count: 0
    .symbol:         _ZN9rocsparseL22bsrxmvn_general_kernelILj64ELj8E21rocsparse_complex_numIdElldS2_S2_EEv20rocsparse_direction_NS_24const_host_device_scalarIT1_EET3_PKS7_PKT2_SC_S9_PKT4_S7_PKT5_S6_PT6_21rocsparse_index_base_b.kd
    .uniform_work_group_size: 1
    .uses_dynamic_stack: false
    .vgpr_count:     35
    .vgpr_spill_count: 0
    .wavefront_size: 32
    .workgroup_processor_mode: 1
  - .args:
      - .offset:         0
        .size:           4
        .value_kind:     by_value
      - .offset:         8
        .size:           16
        .value_kind:     by_value
      - .offset:         24
        .size:           8
        .value_kind:     by_value
      - .actual_access:  read_only
        .address_space:  global
        .offset:         32
        .size:           8
        .value_kind:     global_buffer
      - .actual_access:  read_only
        .address_space:  global
        .offset:         40
        .size:           8
        .value_kind:     global_buffer
      - .actual_access:  read_only
        .address_space:  global
        .offset:         48
        .size:           8
        .value_kind:     global_buffer
      - .actual_access:  read_only
        .address_space:  global
        .offset:         56
        .size:           8
        .value_kind:     global_buffer
      - .actual_access:  read_only
        .address_space:  global
        .offset:         64
        .size:           8
        .value_kind:     global_buffer
      - .offset:         72
        .size:           8
        .value_kind:     by_value
      - .actual_access:  read_only
        .address_space:  global
        .offset:         80
        .size:           8
        .value_kind:     global_buffer
      - .offset:         88
        .size:           16
        .value_kind:     by_value
      - .address_space:  global
        .offset:         104
        .size:           8
        .value_kind:     global_buffer
      - .offset:         112
        .size:           4
        .value_kind:     by_value
      - .offset:         116
        .size:           1
        .value_kind:     by_value
    .group_segment_fixed_size: 0
    .kernarg_segment_align: 8
    .kernarg_segment_size: 120
    .language:       OpenCL C
    .language_version:
      - 2
      - 0
    .max_flat_workgroup_size: 256
    .name:           _ZN9rocsparseL22bsrxmvn_general_kernelILj256ELj16E21rocsparse_complex_numIdElldS2_S2_EEv20rocsparse_direction_NS_24const_host_device_scalarIT1_EET3_PKS7_PKT2_SC_S9_PKT4_S7_PKT5_S6_PT6_21rocsparse_index_base_b
    .private_segment_fixed_size: 0
    .sgpr_count:     38
    .sgpr_spill_count: 0
    .symbol:         _ZN9rocsparseL22bsrxmvn_general_kernelILj256ELj16E21rocsparse_complex_numIdElldS2_S2_EEv20rocsparse_direction_NS_24const_host_device_scalarIT1_EET3_PKS7_PKT2_SC_S9_PKT4_S7_PKT5_S6_PT6_21rocsparse_index_base_b.kd
    .uniform_work_group_size: 1
    .uses_dynamic_stack: false
    .vgpr_count:     36
    .vgpr_spill_count: 0
    .wavefront_size: 32
    .workgroup_processor_mode: 1
  - .args:
      - .offset:         0
        .size:           4
        .value_kind:     by_value
      - .offset:         8
        .size:           16
        .value_kind:     by_value
      - .offset:         24
        .size:           8
        .value_kind:     by_value
      - .actual_access:  read_only
        .address_space:  global
        .offset:         32
        .size:           8
        .value_kind:     global_buffer
      - .actual_access:  read_only
        .address_space:  global
        .offset:         40
        .size:           8
        .value_kind:     global_buffer
      - .actual_access:  read_only
        .address_space:  global
        .offset:         48
        .size:           8
        .value_kind:     global_buffer
      - .actual_access:  read_only
        .address_space:  global
        .offset:         56
        .size:           8
        .value_kind:     global_buffer
      - .actual_access:  read_only
        .address_space:  global
        .offset:         64
        .size:           8
        .value_kind:     global_buffer
      - .offset:         72
        .size:           8
        .value_kind:     by_value
      - .actual_access:  read_only
        .address_space:  global
        .offset:         80
        .size:           8
        .value_kind:     global_buffer
      - .offset:         88
        .size:           16
        .value_kind:     by_value
      - .address_space:  global
        .offset:         104
        .size:           8
        .value_kind:     global_buffer
      - .offset:         112
        .size:           4
        .value_kind:     by_value
      - .offset:         116
        .size:           1
        .value_kind:     by_value
    .group_segment_fixed_size: 0
    .kernarg_segment_align: 8
    .kernarg_segment_size: 120
    .language:       OpenCL C
    .language_version:
      - 2
      - 0
    .max_flat_workgroup_size: 1024
    .name:           _ZN9rocsparseL22bsrxmvn_general_kernelILj1024ELj32E21rocsparse_complex_numIdElldS2_S2_EEv20rocsparse_direction_NS_24const_host_device_scalarIT1_EET3_PKS7_PKT2_SC_S9_PKT4_S7_PKT5_S6_PT6_21rocsparse_index_base_b
    .private_segment_fixed_size: 0
    .sgpr_count:     38
    .sgpr_spill_count: 0
    .symbol:         _ZN9rocsparseL22bsrxmvn_general_kernelILj1024ELj32E21rocsparse_complex_numIdElldS2_S2_EEv20rocsparse_direction_NS_24const_host_device_scalarIT1_EET3_PKS7_PKT2_SC_S9_PKT4_S7_PKT5_S6_PT6_21rocsparse_index_base_b.kd
    .uniform_work_group_size: 1
    .uses_dynamic_stack: false
    .vgpr_count:     37
    .vgpr_spill_count: 0
    .wavefront_size: 32
    .workgroup_processor_mode: 1
  - .args:
      - .offset:         0
        .size:           4
        .value_kind:     by_value
      - .offset:         8
        .size:           16
        .value_kind:     by_value
      - .offset:         24
        .size:           4
        .value_kind:     by_value
      - .actual_access:  read_only
        .address_space:  global
        .offset:         32
        .size:           8
        .value_kind:     global_buffer
      - .actual_access:  read_only
        .address_space:  global
        .offset:         40
        .size:           8
        .value_kind:     global_buffer
      - .actual_access:  read_only
        .address_space:  global
        .offset:         48
        .size:           8
        .value_kind:     global_buffer
      - .actual_access:  read_only
        .address_space:  global
        .offset:         56
        .size:           8
        .value_kind:     global_buffer
      - .actual_access:  read_only
        .address_space:  global
        .offset:         64
        .size:           8
        .value_kind:     global_buffer
      - .offset:         72
        .size:           4
        .value_kind:     by_value
      - .actual_access:  read_only
        .address_space:  global
        .offset:         80
        .size:           8
        .value_kind:     global_buffer
      - .offset:         88
        .size:           16
        .value_kind:     by_value
      - .address_space:  global
        .offset:         104
        .size:           8
        .value_kind:     global_buffer
      - .offset:         112
        .size:           4
        .value_kind:     by_value
      - .offset:         116
        .size:           1
        .value_kind:     by_value
    .group_segment_fixed_size: 0
    .kernarg_segment_align: 8
    .kernarg_segment_size: 120
    .language:       OpenCL C
    .language_version:
      - 2
      - 0
    .max_flat_workgroup_size: 64
    .name:           _ZN9rocsparseL22bsrxmvn_general_kernelILj64ELj8E21rocsparse_complex_numIdEiiS1_IfES2_S2_EEv20rocsparse_direction_NS_24const_host_device_scalarIT1_EET3_PKS8_PKT2_SD_SA_PKT4_S8_PKT5_S7_PT6_21rocsparse_index_base_b
    .private_segment_fixed_size: 0
    .sgpr_count:     32
    .sgpr_spill_count: 0
    .symbol:         _ZN9rocsparseL22bsrxmvn_general_kernelILj64ELj8E21rocsparse_complex_numIdEiiS1_IfES2_S2_EEv20rocsparse_direction_NS_24const_host_device_scalarIT1_EET3_PKS8_PKT2_SD_SA_PKT4_S8_PKT5_S7_PT6_21rocsparse_index_base_b.kd
    .uniform_work_group_size: 1
    .uses_dynamic_stack: false
    .vgpr_count:     36
    .vgpr_spill_count: 0
    .wavefront_size: 32
    .workgroup_processor_mode: 1
  - .args:
      - .offset:         0
        .size:           4
        .value_kind:     by_value
      - .offset:         8
        .size:           16
        .value_kind:     by_value
      - .offset:         24
        .size:           4
        .value_kind:     by_value
      - .actual_access:  read_only
        .address_space:  global
        .offset:         32
        .size:           8
        .value_kind:     global_buffer
      - .actual_access:  read_only
        .address_space:  global
        .offset:         40
        .size:           8
        .value_kind:     global_buffer
      - .actual_access:  read_only
        .address_space:  global
        .offset:         48
        .size:           8
        .value_kind:     global_buffer
      - .actual_access:  read_only
        .address_space:  global
        .offset:         56
        .size:           8
        .value_kind:     global_buffer
      - .actual_access:  read_only
        .address_space:  global
        .offset:         64
        .size:           8
        .value_kind:     global_buffer
      - .offset:         72
        .size:           4
        .value_kind:     by_value
      - .actual_access:  read_only
        .address_space:  global
        .offset:         80
        .size:           8
        .value_kind:     global_buffer
      - .offset:         88
        .size:           16
        .value_kind:     by_value
      - .address_space:  global
        .offset:         104
        .size:           8
        .value_kind:     global_buffer
      - .offset:         112
        .size:           4
        .value_kind:     by_value
      - .offset:         116
        .size:           1
        .value_kind:     by_value
    .group_segment_fixed_size: 0
    .kernarg_segment_align: 8
    .kernarg_segment_size: 120
    .language:       OpenCL C
    .language_version:
      - 2
      - 0
    .max_flat_workgroup_size: 256
    .name:           _ZN9rocsparseL22bsrxmvn_general_kernelILj256ELj16E21rocsparse_complex_numIdEiiS1_IfES2_S2_EEv20rocsparse_direction_NS_24const_host_device_scalarIT1_EET3_PKS8_PKT2_SD_SA_PKT4_S8_PKT5_S7_PT6_21rocsparse_index_base_b
    .private_segment_fixed_size: 0
    .sgpr_count:     32
    .sgpr_spill_count: 0
    .symbol:         _ZN9rocsparseL22bsrxmvn_general_kernelILj256ELj16E21rocsparse_complex_numIdEiiS1_IfES2_S2_EEv20rocsparse_direction_NS_24const_host_device_scalarIT1_EET3_PKS8_PKT2_SD_SA_PKT4_S8_PKT5_S7_PT6_21rocsparse_index_base_b.kd
    .uniform_work_group_size: 1
    .uses_dynamic_stack: false
    .vgpr_count:     37
    .vgpr_spill_count: 0
    .wavefront_size: 32
    .workgroup_processor_mode: 1
  - .args:
      - .offset:         0
        .size:           4
        .value_kind:     by_value
      - .offset:         8
        .size:           16
        .value_kind:     by_value
      - .offset:         24
        .size:           4
        .value_kind:     by_value
      - .actual_access:  read_only
        .address_space:  global
        .offset:         32
        .size:           8
        .value_kind:     global_buffer
      - .actual_access:  read_only
        .address_space:  global
        .offset:         40
        .size:           8
        .value_kind:     global_buffer
      - .actual_access:  read_only
        .address_space:  global
        .offset:         48
        .size:           8
        .value_kind:     global_buffer
      - .actual_access:  read_only
        .address_space:  global
        .offset:         56
        .size:           8
        .value_kind:     global_buffer
      - .actual_access:  read_only
        .address_space:  global
        .offset:         64
        .size:           8
        .value_kind:     global_buffer
      - .offset:         72
        .size:           4
        .value_kind:     by_value
      - .actual_access:  read_only
        .address_space:  global
        .offset:         80
        .size:           8
        .value_kind:     global_buffer
      - .offset:         88
        .size:           16
        .value_kind:     by_value
      - .address_space:  global
        .offset:         104
        .size:           8
        .value_kind:     global_buffer
      - .offset:         112
        .size:           4
        .value_kind:     by_value
      - .offset:         116
        .size:           1
        .value_kind:     by_value
    .group_segment_fixed_size: 0
    .kernarg_segment_align: 8
    .kernarg_segment_size: 120
    .language:       OpenCL C
    .language_version:
      - 2
      - 0
    .max_flat_workgroup_size: 1024
    .name:           _ZN9rocsparseL22bsrxmvn_general_kernelILj1024ELj32E21rocsparse_complex_numIdEiiS1_IfES2_S2_EEv20rocsparse_direction_NS_24const_host_device_scalarIT1_EET3_PKS8_PKT2_SD_SA_PKT4_S8_PKT5_S7_PT6_21rocsparse_index_base_b
    .private_segment_fixed_size: 0
    .sgpr_count:     32
    .sgpr_spill_count: 0
    .symbol:         _ZN9rocsparseL22bsrxmvn_general_kernelILj1024ELj32E21rocsparse_complex_numIdEiiS1_IfES2_S2_EEv20rocsparse_direction_NS_24const_host_device_scalarIT1_EET3_PKS8_PKT2_SD_SA_PKT4_S8_PKT5_S7_PT6_21rocsparse_index_base_b.kd
    .uniform_work_group_size: 1
    .uses_dynamic_stack: false
    .vgpr_count:     38
    .vgpr_spill_count: 0
    .wavefront_size: 32
    .workgroup_processor_mode: 1
  - .args:
      - .offset:         0
        .size:           4
        .value_kind:     by_value
      - .offset:         8
        .size:           16
        .value_kind:     by_value
      - .offset:         24
        .size:           4
        .value_kind:     by_value
      - .actual_access:  read_only
        .address_space:  global
        .offset:         32
        .size:           8
        .value_kind:     global_buffer
      - .actual_access:  read_only
        .address_space:  global
        .offset:         40
        .size:           8
        .value_kind:     global_buffer
      - .actual_access:  read_only
        .address_space:  global
        .offset:         48
        .size:           8
        .value_kind:     global_buffer
      - .actual_access:  read_only
        .address_space:  global
        .offset:         56
        .size:           8
        .value_kind:     global_buffer
      - .actual_access:  read_only
        .address_space:  global
        .offset:         64
        .size:           8
        .value_kind:     global_buffer
      - .offset:         72
        .size:           4
        .value_kind:     by_value
      - .actual_access:  read_only
        .address_space:  global
        .offset:         80
        .size:           8
        .value_kind:     global_buffer
      - .offset:         88
        .size:           16
        .value_kind:     by_value
      - .address_space:  global
        .offset:         104
        .size:           8
        .value_kind:     global_buffer
      - .offset:         112
        .size:           4
        .value_kind:     by_value
      - .offset:         116
        .size:           1
        .value_kind:     by_value
    .group_segment_fixed_size: 0
    .kernarg_segment_align: 8
    .kernarg_segment_size: 120
    .language:       OpenCL C
    .language_version:
      - 2
      - 0
    .max_flat_workgroup_size: 64
    .name:           _ZN9rocsparseL22bsrxmvn_general_kernelILj64ELj8E21rocsparse_complex_numIdEliS1_IfES2_S2_EEv20rocsparse_direction_NS_24const_host_device_scalarIT1_EET3_PKS8_PKT2_SD_SA_PKT4_S8_PKT5_S7_PT6_21rocsparse_index_base_b
    .private_segment_fixed_size: 0
    .sgpr_count:     34
    .sgpr_spill_count: 0
    .symbol:         _ZN9rocsparseL22bsrxmvn_general_kernelILj64ELj8E21rocsparse_complex_numIdEliS1_IfES2_S2_EEv20rocsparse_direction_NS_24const_host_device_scalarIT1_EET3_PKS8_PKT2_SD_SA_PKT4_S8_PKT5_S7_PT6_21rocsparse_index_base_b.kd
    .uniform_work_group_size: 1
    .uses_dynamic_stack: false
    .vgpr_count:     36
    .vgpr_spill_count: 0
    .wavefront_size: 32
    .workgroup_processor_mode: 1
  - .args:
      - .offset:         0
        .size:           4
        .value_kind:     by_value
      - .offset:         8
        .size:           16
        .value_kind:     by_value
      - .offset:         24
        .size:           4
        .value_kind:     by_value
      - .actual_access:  read_only
        .address_space:  global
        .offset:         32
        .size:           8
        .value_kind:     global_buffer
      - .actual_access:  read_only
        .address_space:  global
        .offset:         40
        .size:           8
        .value_kind:     global_buffer
      - .actual_access:  read_only
        .address_space:  global
        .offset:         48
        .size:           8
        .value_kind:     global_buffer
      - .actual_access:  read_only
        .address_space:  global
        .offset:         56
        .size:           8
        .value_kind:     global_buffer
      - .actual_access:  read_only
        .address_space:  global
        .offset:         64
        .size:           8
        .value_kind:     global_buffer
      - .offset:         72
        .size:           4
        .value_kind:     by_value
      - .actual_access:  read_only
        .address_space:  global
        .offset:         80
        .size:           8
        .value_kind:     global_buffer
      - .offset:         88
        .size:           16
        .value_kind:     by_value
      - .address_space:  global
        .offset:         104
        .size:           8
        .value_kind:     global_buffer
      - .offset:         112
        .size:           4
        .value_kind:     by_value
      - .offset:         116
        .size:           1
        .value_kind:     by_value
    .group_segment_fixed_size: 0
    .kernarg_segment_align: 8
    .kernarg_segment_size: 120
    .language:       OpenCL C
    .language_version:
      - 2
      - 0
    .max_flat_workgroup_size: 256
    .name:           _ZN9rocsparseL22bsrxmvn_general_kernelILj256ELj16E21rocsparse_complex_numIdEliS1_IfES2_S2_EEv20rocsparse_direction_NS_24const_host_device_scalarIT1_EET3_PKS8_PKT2_SD_SA_PKT4_S8_PKT5_S7_PT6_21rocsparse_index_base_b
    .private_segment_fixed_size: 0
    .sgpr_count:     34
    .sgpr_spill_count: 0
    .symbol:         _ZN9rocsparseL22bsrxmvn_general_kernelILj256ELj16E21rocsparse_complex_numIdEliS1_IfES2_S2_EEv20rocsparse_direction_NS_24const_host_device_scalarIT1_EET3_PKS8_PKT2_SD_SA_PKT4_S8_PKT5_S7_PT6_21rocsparse_index_base_b.kd
    .uniform_work_group_size: 1
    .uses_dynamic_stack: false
    .vgpr_count:     37
    .vgpr_spill_count: 0
    .wavefront_size: 32
    .workgroup_processor_mode: 1
  - .args:
      - .offset:         0
        .size:           4
        .value_kind:     by_value
      - .offset:         8
        .size:           16
        .value_kind:     by_value
      - .offset:         24
        .size:           4
        .value_kind:     by_value
      - .actual_access:  read_only
        .address_space:  global
        .offset:         32
        .size:           8
        .value_kind:     global_buffer
      - .actual_access:  read_only
        .address_space:  global
        .offset:         40
        .size:           8
        .value_kind:     global_buffer
      - .actual_access:  read_only
        .address_space:  global
        .offset:         48
        .size:           8
        .value_kind:     global_buffer
      - .actual_access:  read_only
        .address_space:  global
        .offset:         56
        .size:           8
        .value_kind:     global_buffer
      - .actual_access:  read_only
        .address_space:  global
        .offset:         64
        .size:           8
        .value_kind:     global_buffer
      - .offset:         72
        .size:           4
        .value_kind:     by_value
      - .actual_access:  read_only
        .address_space:  global
        .offset:         80
        .size:           8
        .value_kind:     global_buffer
      - .offset:         88
        .size:           16
        .value_kind:     by_value
      - .address_space:  global
        .offset:         104
        .size:           8
        .value_kind:     global_buffer
      - .offset:         112
        .size:           4
        .value_kind:     by_value
      - .offset:         116
        .size:           1
        .value_kind:     by_value
    .group_segment_fixed_size: 0
    .kernarg_segment_align: 8
    .kernarg_segment_size: 120
    .language:       OpenCL C
    .language_version:
      - 2
      - 0
    .max_flat_workgroup_size: 1024
    .name:           _ZN9rocsparseL22bsrxmvn_general_kernelILj1024ELj32E21rocsparse_complex_numIdEliS1_IfES2_S2_EEv20rocsparse_direction_NS_24const_host_device_scalarIT1_EET3_PKS8_PKT2_SD_SA_PKT4_S8_PKT5_S7_PT6_21rocsparse_index_base_b
    .private_segment_fixed_size: 0
    .sgpr_count:     34
    .sgpr_spill_count: 0
    .symbol:         _ZN9rocsparseL22bsrxmvn_general_kernelILj1024ELj32E21rocsparse_complex_numIdEliS1_IfES2_S2_EEv20rocsparse_direction_NS_24const_host_device_scalarIT1_EET3_PKS8_PKT2_SD_SA_PKT4_S8_PKT5_S7_PT6_21rocsparse_index_base_b.kd
    .uniform_work_group_size: 1
    .uses_dynamic_stack: false
    .vgpr_count:     38
    .vgpr_spill_count: 0
    .wavefront_size: 32
    .workgroup_processor_mode: 1
  - .args:
      - .offset:         0
        .size:           4
        .value_kind:     by_value
      - .offset:         8
        .size:           16
        .value_kind:     by_value
      - .offset:         24
        .size:           8
        .value_kind:     by_value
      - .actual_access:  read_only
        .address_space:  global
        .offset:         32
        .size:           8
        .value_kind:     global_buffer
      - .actual_access:  read_only
        .address_space:  global
        .offset:         40
        .size:           8
        .value_kind:     global_buffer
      - .actual_access:  read_only
        .address_space:  global
        .offset:         48
        .size:           8
        .value_kind:     global_buffer
      - .actual_access:  read_only
        .address_space:  global
        .offset:         56
        .size:           8
        .value_kind:     global_buffer
      - .actual_access:  read_only
        .address_space:  global
        .offset:         64
        .size:           8
        .value_kind:     global_buffer
      - .offset:         72
        .size:           8
        .value_kind:     by_value
      - .actual_access:  read_only
        .address_space:  global
        .offset:         80
        .size:           8
        .value_kind:     global_buffer
      - .offset:         88
        .size:           16
        .value_kind:     by_value
      - .address_space:  global
        .offset:         104
        .size:           8
        .value_kind:     global_buffer
      - .offset:         112
        .size:           4
        .value_kind:     by_value
      - .offset:         116
        .size:           1
        .value_kind:     by_value
    .group_segment_fixed_size: 0
    .kernarg_segment_align: 8
    .kernarg_segment_size: 120
    .language:       OpenCL C
    .language_version:
      - 2
      - 0
    .max_flat_workgroup_size: 64
    .name:           _ZN9rocsparseL22bsrxmvn_general_kernelILj64ELj8E21rocsparse_complex_numIdEllS1_IfES2_S2_EEv20rocsparse_direction_NS_24const_host_device_scalarIT1_EET3_PKS8_PKT2_SD_SA_PKT4_S8_PKT5_S7_PT6_21rocsparse_index_base_b
    .private_segment_fixed_size: 0
    .sgpr_count:     38
    .sgpr_spill_count: 0
    .symbol:         _ZN9rocsparseL22bsrxmvn_general_kernelILj64ELj8E21rocsparse_complex_numIdEllS1_IfES2_S2_EEv20rocsparse_direction_NS_24const_host_device_scalarIT1_EET3_PKS8_PKT2_SD_SA_PKT4_S8_PKT5_S7_PT6_21rocsparse_index_base_b.kd
    .uniform_work_group_size: 1
    .uses_dynamic_stack: false
    .vgpr_count:     37
    .vgpr_spill_count: 0
    .wavefront_size: 32
    .workgroup_processor_mode: 1
  - .args:
      - .offset:         0
        .size:           4
        .value_kind:     by_value
      - .offset:         8
        .size:           16
        .value_kind:     by_value
      - .offset:         24
        .size:           8
        .value_kind:     by_value
      - .actual_access:  read_only
        .address_space:  global
        .offset:         32
        .size:           8
        .value_kind:     global_buffer
      - .actual_access:  read_only
        .address_space:  global
        .offset:         40
        .size:           8
        .value_kind:     global_buffer
      - .actual_access:  read_only
        .address_space:  global
        .offset:         48
        .size:           8
        .value_kind:     global_buffer
      - .actual_access:  read_only
        .address_space:  global
        .offset:         56
        .size:           8
        .value_kind:     global_buffer
      - .actual_access:  read_only
        .address_space:  global
        .offset:         64
        .size:           8
        .value_kind:     global_buffer
      - .offset:         72
        .size:           8
        .value_kind:     by_value
      - .actual_access:  read_only
        .address_space:  global
        .offset:         80
        .size:           8
        .value_kind:     global_buffer
      - .offset:         88
        .size:           16
        .value_kind:     by_value
      - .address_space:  global
        .offset:         104
        .size:           8
        .value_kind:     global_buffer
      - .offset:         112
        .size:           4
        .value_kind:     by_value
      - .offset:         116
        .size:           1
        .value_kind:     by_value
    .group_segment_fixed_size: 0
    .kernarg_segment_align: 8
    .kernarg_segment_size: 120
    .language:       OpenCL C
    .language_version:
      - 2
      - 0
    .max_flat_workgroup_size: 256
    .name:           _ZN9rocsparseL22bsrxmvn_general_kernelILj256ELj16E21rocsparse_complex_numIdEllS1_IfES2_S2_EEv20rocsparse_direction_NS_24const_host_device_scalarIT1_EET3_PKS8_PKT2_SD_SA_PKT4_S8_PKT5_S7_PT6_21rocsparse_index_base_b
    .private_segment_fixed_size: 0
    .sgpr_count:     38
    .sgpr_spill_count: 0
    .symbol:         _ZN9rocsparseL22bsrxmvn_general_kernelILj256ELj16E21rocsparse_complex_numIdEllS1_IfES2_S2_EEv20rocsparse_direction_NS_24const_host_device_scalarIT1_EET3_PKS8_PKT2_SD_SA_PKT4_S8_PKT5_S7_PT6_21rocsparse_index_base_b.kd
    .uniform_work_group_size: 1
    .uses_dynamic_stack: false
    .vgpr_count:     38
    .vgpr_spill_count: 0
    .wavefront_size: 32
    .workgroup_processor_mode: 1
  - .args:
      - .offset:         0
        .size:           4
        .value_kind:     by_value
      - .offset:         8
        .size:           16
        .value_kind:     by_value
      - .offset:         24
        .size:           8
        .value_kind:     by_value
      - .actual_access:  read_only
        .address_space:  global
        .offset:         32
        .size:           8
        .value_kind:     global_buffer
      - .actual_access:  read_only
        .address_space:  global
        .offset:         40
        .size:           8
        .value_kind:     global_buffer
      - .actual_access:  read_only
        .address_space:  global
        .offset:         48
        .size:           8
        .value_kind:     global_buffer
      - .actual_access:  read_only
        .address_space:  global
        .offset:         56
        .size:           8
        .value_kind:     global_buffer
      - .actual_access:  read_only
        .address_space:  global
        .offset:         64
        .size:           8
        .value_kind:     global_buffer
      - .offset:         72
        .size:           8
        .value_kind:     by_value
      - .actual_access:  read_only
        .address_space:  global
        .offset:         80
        .size:           8
        .value_kind:     global_buffer
      - .offset:         88
        .size:           16
        .value_kind:     by_value
      - .address_space:  global
        .offset:         104
        .size:           8
        .value_kind:     global_buffer
      - .offset:         112
        .size:           4
        .value_kind:     by_value
      - .offset:         116
        .size:           1
        .value_kind:     by_value
    .group_segment_fixed_size: 0
    .kernarg_segment_align: 8
    .kernarg_segment_size: 120
    .language:       OpenCL C
    .language_version:
      - 2
      - 0
    .max_flat_workgroup_size: 1024
    .name:           _ZN9rocsparseL22bsrxmvn_general_kernelILj1024ELj32E21rocsparse_complex_numIdEllS1_IfES2_S2_EEv20rocsparse_direction_NS_24const_host_device_scalarIT1_EET3_PKS8_PKT2_SD_SA_PKT4_S8_PKT5_S7_PT6_21rocsparse_index_base_b
    .private_segment_fixed_size: 0
    .sgpr_count:     38
    .sgpr_spill_count: 0
    .symbol:         _ZN9rocsparseL22bsrxmvn_general_kernelILj1024ELj32E21rocsparse_complex_numIdEllS1_IfES2_S2_EEv20rocsparse_direction_NS_24const_host_device_scalarIT1_EET3_PKS8_PKT2_SD_SA_PKT4_S8_PKT5_S7_PT6_21rocsparse_index_base_b.kd
    .uniform_work_group_size: 1
    .uses_dynamic_stack: false
    .vgpr_count:     39
    .vgpr_spill_count: 0
    .wavefront_size: 32
    .workgroup_processor_mode: 1
amdhsa.target:   amdgcn-amd-amdhsa--gfx1030
amdhsa.version:
  - 1
  - 2
...

	.end_amdgpu_metadata
